;; amdgpu-corpus repo=ROCm/rocFFT kind=compiled arch=gfx906 opt=O3
	.text
	.amdgcn_target "amdgcn-amd-amdhsa--gfx906"
	.amdhsa_code_object_version 6
	.protected	fft_rtc_fwd_len2000_factors_5_5_5_16_wgs_125_tpt_125_halfLds_dp_ip_CI_sbrr_dirReg ; -- Begin function fft_rtc_fwd_len2000_factors_5_5_5_16_wgs_125_tpt_125_halfLds_dp_ip_CI_sbrr_dirReg
	.globl	fft_rtc_fwd_len2000_factors_5_5_5_16_wgs_125_tpt_125_halfLds_dp_ip_CI_sbrr_dirReg
	.p2align	8
	.type	fft_rtc_fwd_len2000_factors_5_5_5_16_wgs_125_tpt_125_halfLds_dp_ip_CI_sbrr_dirReg,@function
fft_rtc_fwd_len2000_factors_5_5_5_16_wgs_125_tpt_125_halfLds_dp_ip_CI_sbrr_dirReg: ; @fft_rtc_fwd_len2000_factors_5_5_5_16_wgs_125_tpt_125_halfLds_dp_ip_CI_sbrr_dirReg
; %bb.0:
	s_load_dwordx2 s[14:15], s[4:5], 0x18
	s_load_dwordx4 s[8:11], s[4:5], 0x0
	s_load_dwordx2 s[12:13], s[4:5], 0x50
	v_mul_u32_u24_e32 v1, 0x20d, v0
	v_add_u32_sdwa v5, s6, v1 dst_sel:DWORD dst_unused:UNUSED_PAD src0_sel:DWORD src1_sel:WORD_1
	s_waitcnt lgkmcnt(0)
	s_load_dwordx2 s[2:3], s[14:15], 0x0
	v_cmp_lt_u64_e64 s[0:1], s[10:11], 2
	v_mov_b32_e32 v3, 0
	v_mov_b32_e32 v1, 0
	;; [unrolled: 1-line block ×3, first 2 shown]
	s_and_b64 vcc, exec, s[0:1]
	v_mov_b32_e32 v2, 0
	s_cbranch_vccnz .LBB0_8
; %bb.1:
	s_load_dwordx2 s[0:1], s[4:5], 0x10
	s_add_u32 s6, s14, 8
	s_addc_u32 s7, s15, 0
	v_mov_b32_e32 v1, 0
	v_mov_b32_e32 v2, 0
	s_waitcnt lgkmcnt(0)
	s_add_u32 s16, s0, 8
	s_addc_u32 s17, s1, 0
	s_mov_b64 s[18:19], 1
.LBB0_2:                                ; =>This Inner Loop Header: Depth=1
	s_load_dwordx2 s[20:21], s[16:17], 0x0
                                        ; implicit-def: $vgpr7_vgpr8
	s_waitcnt lgkmcnt(0)
	v_or_b32_e32 v4, s21, v6
	v_cmp_ne_u64_e32 vcc, 0, v[3:4]
	s_and_saveexec_b64 s[0:1], vcc
	s_xor_b64 s[22:23], exec, s[0:1]
	s_cbranch_execz .LBB0_4
; %bb.3:                                ;   in Loop: Header=BB0_2 Depth=1
	v_cvt_f32_u32_e32 v4, s20
	v_cvt_f32_u32_e32 v7, s21
	s_sub_u32 s0, 0, s20
	s_subb_u32 s1, 0, s21
	v_mac_f32_e32 v4, 0x4f800000, v7
	v_rcp_f32_e32 v4, v4
	v_mul_f32_e32 v4, 0x5f7ffffc, v4
	v_mul_f32_e32 v7, 0x2f800000, v4
	v_trunc_f32_e32 v7, v7
	v_mac_f32_e32 v4, 0xcf800000, v7
	v_cvt_u32_f32_e32 v7, v7
	v_cvt_u32_f32_e32 v4, v4
	v_mul_lo_u32 v8, s0, v7
	v_mul_hi_u32 v9, s0, v4
	v_mul_lo_u32 v11, s1, v4
	v_mul_lo_u32 v10, s0, v4
	v_add_u32_e32 v8, v9, v8
	v_add_u32_e32 v8, v8, v11
	v_mul_hi_u32 v9, v4, v10
	v_mul_lo_u32 v11, v4, v8
	v_mul_hi_u32 v13, v4, v8
	v_mul_hi_u32 v12, v7, v10
	v_mul_lo_u32 v10, v7, v10
	v_mul_hi_u32 v14, v7, v8
	v_add_co_u32_e32 v9, vcc, v9, v11
	v_addc_co_u32_e32 v11, vcc, 0, v13, vcc
	v_mul_lo_u32 v8, v7, v8
	v_add_co_u32_e32 v9, vcc, v9, v10
	v_addc_co_u32_e32 v9, vcc, v11, v12, vcc
	v_addc_co_u32_e32 v10, vcc, 0, v14, vcc
	v_add_co_u32_e32 v8, vcc, v9, v8
	v_addc_co_u32_e32 v9, vcc, 0, v10, vcc
	v_add_co_u32_e32 v4, vcc, v4, v8
	v_addc_co_u32_e32 v7, vcc, v7, v9, vcc
	v_mul_lo_u32 v8, s0, v7
	v_mul_hi_u32 v9, s0, v4
	v_mul_lo_u32 v10, s1, v4
	v_mul_lo_u32 v11, s0, v4
	v_add_u32_e32 v8, v9, v8
	v_add_u32_e32 v8, v8, v10
	v_mul_lo_u32 v12, v4, v8
	v_mul_hi_u32 v13, v4, v11
	v_mul_hi_u32 v14, v4, v8
	;; [unrolled: 1-line block ×3, first 2 shown]
	v_mul_lo_u32 v11, v7, v11
	v_mul_hi_u32 v9, v7, v8
	v_add_co_u32_e32 v12, vcc, v13, v12
	v_addc_co_u32_e32 v13, vcc, 0, v14, vcc
	v_mul_lo_u32 v8, v7, v8
	v_add_co_u32_e32 v11, vcc, v12, v11
	v_addc_co_u32_e32 v10, vcc, v13, v10, vcc
	v_addc_co_u32_e32 v9, vcc, 0, v9, vcc
	v_add_co_u32_e32 v8, vcc, v10, v8
	v_addc_co_u32_e32 v9, vcc, 0, v9, vcc
	v_add_co_u32_e32 v4, vcc, v4, v8
	v_addc_co_u32_e32 v9, vcc, v7, v9, vcc
	v_mad_u64_u32 v[7:8], s[0:1], v5, v9, 0
	v_mul_hi_u32 v10, v5, v4
	v_add_co_u32_e32 v11, vcc, v10, v7
	v_addc_co_u32_e32 v12, vcc, 0, v8, vcc
	v_mad_u64_u32 v[7:8], s[0:1], v6, v4, 0
	v_mad_u64_u32 v[9:10], s[0:1], v6, v9, 0
	v_add_co_u32_e32 v4, vcc, v11, v7
	v_addc_co_u32_e32 v4, vcc, v12, v8, vcc
	v_addc_co_u32_e32 v7, vcc, 0, v10, vcc
	v_add_co_u32_e32 v4, vcc, v4, v9
	v_addc_co_u32_e32 v9, vcc, 0, v7, vcc
	v_mul_lo_u32 v10, s21, v4
	v_mul_lo_u32 v11, s20, v9
	v_mad_u64_u32 v[7:8], s[0:1], s20, v4, 0
	v_add3_u32 v8, v8, v11, v10
	v_sub_u32_e32 v10, v6, v8
	v_mov_b32_e32 v11, s21
	v_sub_co_u32_e32 v7, vcc, v5, v7
	v_subb_co_u32_e64 v10, s[0:1], v10, v11, vcc
	v_subrev_co_u32_e64 v11, s[0:1], s20, v7
	v_subbrev_co_u32_e64 v10, s[0:1], 0, v10, s[0:1]
	v_cmp_le_u32_e64 s[0:1], s21, v10
	v_cndmask_b32_e64 v12, 0, -1, s[0:1]
	v_cmp_le_u32_e64 s[0:1], s20, v11
	v_cndmask_b32_e64 v11, 0, -1, s[0:1]
	v_cmp_eq_u32_e64 s[0:1], s21, v10
	v_cndmask_b32_e64 v10, v12, v11, s[0:1]
	v_add_co_u32_e64 v11, s[0:1], 2, v4
	v_addc_co_u32_e64 v12, s[0:1], 0, v9, s[0:1]
	v_add_co_u32_e64 v13, s[0:1], 1, v4
	v_addc_co_u32_e64 v14, s[0:1], 0, v9, s[0:1]
	v_subb_co_u32_e32 v8, vcc, v6, v8, vcc
	v_cmp_ne_u32_e64 s[0:1], 0, v10
	v_cmp_le_u32_e32 vcc, s21, v8
	v_cndmask_b32_e64 v10, v14, v12, s[0:1]
	v_cndmask_b32_e64 v12, 0, -1, vcc
	v_cmp_le_u32_e32 vcc, s20, v7
	v_cndmask_b32_e64 v7, 0, -1, vcc
	v_cmp_eq_u32_e32 vcc, s21, v8
	v_cndmask_b32_e32 v7, v12, v7, vcc
	v_cmp_ne_u32_e32 vcc, 0, v7
	v_cndmask_b32_e64 v7, v13, v11, s[0:1]
	v_cndmask_b32_e32 v8, v9, v10, vcc
	v_cndmask_b32_e32 v7, v4, v7, vcc
.LBB0_4:                                ;   in Loop: Header=BB0_2 Depth=1
	s_andn2_saveexec_b64 s[0:1], s[22:23]
	s_cbranch_execz .LBB0_6
; %bb.5:                                ;   in Loop: Header=BB0_2 Depth=1
	v_cvt_f32_u32_e32 v4, s20
	s_sub_i32 s22, 0, s20
	v_rcp_iflag_f32_e32 v4, v4
	v_mul_f32_e32 v4, 0x4f7ffffe, v4
	v_cvt_u32_f32_e32 v4, v4
	v_mul_lo_u32 v7, s22, v4
	v_mul_hi_u32 v7, v4, v7
	v_add_u32_e32 v4, v4, v7
	v_mul_hi_u32 v4, v5, v4
	v_mul_lo_u32 v7, v4, s20
	v_add_u32_e32 v8, 1, v4
	v_sub_u32_e32 v7, v5, v7
	v_subrev_u32_e32 v9, s20, v7
	v_cmp_le_u32_e32 vcc, s20, v7
	v_cndmask_b32_e32 v7, v7, v9, vcc
	v_cndmask_b32_e32 v4, v4, v8, vcc
	v_add_u32_e32 v8, 1, v4
	v_cmp_le_u32_e32 vcc, s20, v7
	v_cndmask_b32_e32 v7, v4, v8, vcc
	v_mov_b32_e32 v8, v3
.LBB0_6:                                ;   in Loop: Header=BB0_2 Depth=1
	s_or_b64 exec, exec, s[0:1]
	v_mul_lo_u32 v4, v8, s20
	v_mul_lo_u32 v11, v7, s21
	v_mad_u64_u32 v[9:10], s[0:1], v7, s20, 0
	s_load_dwordx2 s[0:1], s[6:7], 0x0
	s_add_u32 s18, s18, 1
	v_add3_u32 v4, v10, v11, v4
	v_sub_co_u32_e32 v5, vcc, v5, v9
	v_subb_co_u32_e32 v4, vcc, v6, v4, vcc
	s_waitcnt lgkmcnt(0)
	v_mul_lo_u32 v4, s0, v4
	v_mul_lo_u32 v6, s1, v5
	v_mad_u64_u32 v[1:2], s[0:1], s0, v5, v[1:2]
	s_addc_u32 s19, s19, 0
	s_add_u32 s6, s6, 8
	v_add3_u32 v2, v6, v2, v4
	v_mov_b32_e32 v4, s10
	v_mov_b32_e32 v5, s11
	s_addc_u32 s7, s7, 0
	v_cmp_ge_u64_e32 vcc, s[18:19], v[4:5]
	s_add_u32 s16, s16, 8
	s_addc_u32 s17, s17, 0
	s_cbranch_vccnz .LBB0_9
; %bb.7:                                ;   in Loop: Header=BB0_2 Depth=1
	v_mov_b32_e32 v5, v7
	v_mov_b32_e32 v6, v8
	s_branch .LBB0_2
.LBB0_8:
	v_mov_b32_e32 v8, v6
	v_mov_b32_e32 v7, v5
.LBB0_9:
	s_lshl_b64 s[0:1], s[10:11], 3
	s_add_u32 s0, s14, s0
	s_addc_u32 s1, s15, s1
	s_load_dwordx2 s[6:7], s[0:1], 0x0
	s_load_dwordx2 s[10:11], s[4:5], 0x20
                                        ; implicit-def: $vgpr134
                                        ; implicit-def: $vgpr135
	s_waitcnt lgkmcnt(0)
	v_mad_u64_u32 v[1:2], s[0:1], s6, v7, v[1:2]
	s_mov_b32 s0, 0x20c49bb
	v_mul_lo_u32 v3, s6, v8
	v_mul_lo_u32 v4, s7, v7
	v_mul_hi_u32 v5, v0, s0
	v_cmp_gt_u64_e32 vcc, s[10:11], v[7:8]
	v_cmp_le_u64_e64 s[0:1], s[10:11], v[7:8]
	v_add3_u32 v2, v4, v2, v3
	v_mul_u32_u24_e32 v3, 0x7d, v5
	v_sub_u32_e32 v133, v0, v3
                                        ; implicit-def: $sgpr6
	s_and_saveexec_b64 s[4:5], s[0:1]
	s_xor_b64 s[0:1], exec, s[4:5]
; %bb.10:
	v_add_u32_e32 v134, 0x7d, v133
	v_add_u32_e32 v135, 0xfa, v133
	s_mov_b32 s6, 0
; %bb.11:
	s_or_saveexec_b64 s[4:5], s[0:1]
	v_lshlrev_b64 v[104:105], 4, v[1:2]
	v_mov_b32_e32 v132, s6
                                        ; implicit-def: $vgpr46_vgpr47
                                        ; implicit-def: $vgpr54_vgpr55
                                        ; implicit-def: $vgpr58_vgpr59
                                        ; implicit-def: $vgpr62_vgpr63
                                        ; implicit-def: $vgpr30_vgpr31
                                        ; implicit-def: $vgpr22_vgpr23
                                        ; implicit-def: $vgpr26_vgpr27
                                        ; implicit-def: $vgpr18_vgpr19
                                        ; implicit-def: $vgpr10_vgpr11
                                        ; implicit-def: $vgpr14_vgpr15
                                        ; implicit-def: $vgpr2_vgpr3
                                        ; implicit-def: $vgpr6_vgpr7
                                        ; implicit-def: $vgpr70_vgpr71
                                        ; implicit-def: $vgpr66_vgpr67
                                        ; implicit-def: $vgpr74_vgpr75
                                        ; implicit-def: $vgpr42_vgpr43
                                        ; implicit-def: $vgpr50_vgpr51
                                        ; implicit-def: $vgpr38_vgpr39
                                        ; implicit-def: $vgpr34_vgpr35
                                        ; implicit-def: $vgpr78_vgpr79
	s_xor_b64 exec, exec, s[4:5]
	s_cbranch_execz .LBB0_15
; %bb.12:
	v_mad_u64_u32 v[0:1], s[0:1], s2, v133, 0
	v_add_u32_e32 v5, 0x190, v133
	v_mov_b32_e32 v4, s13
	v_mad_u64_u32 v[1:2], s[0:1], s3, v133, v[1:2]
	v_mad_u64_u32 v[2:3], s[0:1], s2, v5, 0
	v_add_co_u32_e64 v70, s[0:1], s12, v104
	v_addc_co_u32_e64 v71, s[0:1], v4, v105, s[0:1]
	v_mad_u64_u32 v[3:4], s[0:1], s3, v5, v[3:4]
	v_add_u32_e32 v6, 0x320, v133
	v_mad_u64_u32 v[4:5], s[0:1], s2, v6, 0
	v_lshlrev_b64 v[0:1], 4, v[0:1]
	v_add_u32_e32 v8, 0x4b0, v133
	v_add_co_u32_e64 v0, s[0:1], v70, v0
	v_addc_co_u32_e64 v1, s[0:1], v71, v1, s[0:1]
	v_mad_u64_u32 v[5:6], s[0:1], s3, v6, v[5:6]
	v_mad_u64_u32 v[6:7], s[0:1], s2, v8, 0
	v_lshlrev_b64 v[2:3], 4, v[2:3]
	v_add_u32_e32 v10, 0x640, v133
	v_add_co_u32_e64 v2, s[0:1], v70, v2
	v_addc_co_u32_e64 v3, s[0:1], v71, v3, s[0:1]
	v_mad_u64_u32 v[7:8], s[0:1], s3, v8, v[7:8]
	v_mad_u64_u32 v[8:9], s[0:1], s2, v10, 0
	v_lshlrev_b64 v[4:5], 4, v[4:5]
	v_add_u32_e32 v134, 0x7d, v133
	v_add_co_u32_e64 v40, s[0:1], v70, v4
	v_addc_co_u32_e64 v41, s[0:1], v71, v5, s[0:1]
	v_lshlrev_b64 v[4:5], 4, v[6:7]
	v_mov_b32_e32 v6, v9
	v_mad_u64_u32 v[6:7], s[0:1], s3, v10, v[6:7]
	v_mad_u64_u32 v[10:11], s[0:1], s2, v134, 0
	v_add_co_u32_e64 v42, s[0:1], v70, v4
	v_mov_b32_e32 v9, v6
	v_mov_b32_e32 v6, v11
	v_addc_co_u32_e64 v43, s[0:1], v71, v5, s[0:1]
	v_lshlrev_b64 v[4:5], 4, v[8:9]
	v_mad_u64_u32 v[6:7], s[0:1], s3, v134, v[6:7]
	v_add_u32_e32 v9, 0x20d, v133
	v_mad_u64_u32 v[7:8], s[0:1], s2, v9, 0
	v_add_co_u32_e64 v48, s[0:1], v70, v4
	v_mov_b32_e32 v11, v6
	v_mov_b32_e32 v6, v8
	v_addc_co_u32_e64 v49, s[0:1], v71, v5, s[0:1]
	v_lshlrev_b64 v[4:5], 4, v[10:11]
	v_mad_u64_u32 v[8:9], s[0:1], s3, v9, v[6:7]
	v_add_u32_e32 v11, 0x39d, v133
	v_mad_u64_u32 v[9:10], s[0:1], s2, v11, 0
	v_add_co_u32_e64 v50, s[0:1], v70, v4
	v_mov_b32_e32 v6, v10
	v_addc_co_u32_e64 v51, s[0:1], v71, v5, s[0:1]
	v_lshlrev_b64 v[4:5], 4, v[7:8]
	v_mad_u64_u32 v[6:7], s[0:1], s3, v11, v[6:7]
	v_add_u32_e32 v11, 0x52d, v133
	v_mad_u64_u32 v[7:8], s[0:1], s2, v11, 0
	v_add_co_u32_e64 v64, s[0:1], v70, v4
	v_mov_b32_e32 v10, v6
	v_mov_b32_e32 v6, v8
	v_addc_co_u32_e64 v65, s[0:1], v71, v5, s[0:1]
	v_lshlrev_b64 v[4:5], 4, v[9:10]
	v_mad_u64_u32 v[8:9], s[0:1], s3, v11, v[6:7]
	v_add_u32_e32 v11, 0x6bd, v133
	v_mad_u64_u32 v[9:10], s[0:1], s2, v11, 0
	v_add_co_u32_e64 v66, s[0:1], v70, v4
	;; [unrolled: 15-line block ×4, first 2 shown]
	v_mov_b32_e32 v6, v10
	v_addc_co_u32_e64 v81, s[0:1], v71, v5, s[0:1]
	v_lshlrev_b64 v[4:5], 4, v[7:8]
	v_mad_u64_u32 v[6:7], s[0:1], s3, v11, v[6:7]
	v_add_u32_e32 v11, 0x73a, v133
	v_mad_u64_u32 v[7:8], s[0:1], s2, v11, 0
	v_add_co_u32_e64 v82, s[0:1], v70, v4
	v_mov_b32_e32 v10, v6
	v_mov_b32_e32 v6, v8
	v_addc_co_u32_e64 v83, s[0:1], v71, v5, s[0:1]
	v_lshlrev_b64 v[4:5], 4, v[9:10]
	v_mad_u64_u32 v[8:9], s[0:1], s3, v11, v[6:7]
	v_add_co_u32_e64 v84, s[0:1], v70, v4
	global_load_dwordx4 v[76:79], v[0:1], off
	global_load_dwordx4 v[44:47], v[2:3], off
	v_lshlrev_b64 v[0:1], 4, v[7:8]
	v_addc_co_u32_e64 v85, s[0:1], v71, v5, s[0:1]
	v_add_co_u32_e64 v86, s[0:1], v70, v0
	v_addc_co_u32_e64 v87, s[0:1], v71, v1, s[0:1]
	global_load_dwordx4 v[52:55], v[40:41], off
	global_load_dwordx4 v[56:59], v[42:43], off
	;; [unrolled: 1-line block ×13, first 2 shown]
	v_cmp_gt_u32_e64 s[0:1], 25, v133
                                        ; implicit-def: $vgpr48_vgpr49
                                        ; implicit-def: $vgpr40_vgpr41
                                        ; implicit-def: $vgpr72_vgpr73
                                        ; implicit-def: $vgpr64_vgpr65
                                        ; implicit-def: $vgpr68_vgpr69
	s_and_saveexec_b64 s[6:7], s[0:1]
	s_cbranch_execz .LBB0_14
; %bb.13:
	v_add_u32_e32 v48, 0x177, v133
	v_add_u32_e32 v50, 0x307, v133
	v_mad_u64_u32 v[40:41], s[0:1], s2, v48, 0
	v_mad_u64_u32 v[42:43], s[0:1], s2, v50, 0
	v_add_u32_e32 v75, 0x627, v133
	v_mad_u64_u32 v[48:49], s[0:1], s3, v48, v[41:42]
	v_mov_b32_e32 v41, v48
	s_waitcnt vmcnt(13)
	v_mad_u64_u32 v[48:49], s[0:1], s3, v50, v[43:44]
	v_lshlrev_b64 v[40:41], 4, v[40:41]
	v_add_co_u32_e64 v64, s[0:1], v70, v40
	v_mov_b32_e32 v43, v48
	v_addc_co_u32_e64 v65, s[0:1], v71, v41, s[0:1]
	v_lshlrev_b64 v[40:41], 4, v[42:43]
	v_add_u32_e32 v42, 0x497, v133
	v_mad_u64_u32 v[66:67], s[0:1], s2, v42, 0
	v_add_co_u32_e64 v68, s[0:1], v70, v40
	v_mov_b32_e32 v40, v67
	v_addc_co_u32_e64 v69, s[0:1], v71, v41, s[0:1]
	v_mad_u64_u32 v[72:73], s[0:1], s3, v42, v[40:41]
	v_mad_u64_u32 v[73:74], s[0:1], s2, v75, 0
	v_mov_b32_e32 v67, v72
	global_load_dwordx4 v[48:51], v[64:65], off
	global_load_dwordx4 v[40:43], v[68:69], off
	v_lshlrev_b64 v[64:65], 4, v[66:67]
	v_mov_b32_e32 v66, v74
	v_mad_u64_u32 v[66:67], s[0:1], s3, v75, v[66:67]
	v_add_u32_e32 v67, 0x7b7, v133
	v_mad_u64_u32 v[68:69], s[0:1], s2, v67, 0
	v_add_co_u32_e64 v80, s[0:1], v70, v64
	v_mov_b32_e32 v74, v66
	v_mov_b32_e32 v66, v69
	v_addc_co_u32_e64 v81, s[0:1], v71, v65, s[0:1]
	v_mad_u64_u32 v[82:83], s[0:1], s3, v67, v[66:67]
	v_lshlrev_b64 v[64:65], 4, v[73:74]
	v_mov_b32_e32 v69, v82
	v_add_co_u32_e64 v83, s[0:1], v70, v64
	v_lshlrev_b64 v[68:69], 4, v[68:69]
	v_addc_co_u32_e64 v84, s[0:1], v71, v65, s[0:1]
	v_add_co_u32_e64 v68, s[0:1], v70, v68
	v_addc_co_u32_e64 v69, s[0:1], v71, v69, s[0:1]
	global_load_dwordx4 v[72:75], v[80:81], off
	global_load_dwordx4 v[64:67], v[83:84], off
	s_nop 0
	global_load_dwordx4 v[68:71], v[68:69], off
.LBB0_14:
	s_or_b64 exec, exec, s[6:7]
	v_mov_b32_e32 v132, v133
.LBB0_15:
	s_or_b64 exec, exec, s[4:5]
	s_waitcnt vmcnt(11)
	v_add_f64 v[82:83], v[52:53], v[56:57]
	s_waitcnt vmcnt(10)
	v_add_f64 v[84:85], v[46:47], -v[62:63]
	v_add_f64 v[88:89], v[44:45], -v[52:53]
	v_add_f64 v[90:91], v[44:45], v[60:61]
	v_add_f64 v[92:93], v[60:61], -v[56:57]
	s_mov_b32 s0, 0x134454ff
	s_mov_b32 s1, 0x3fee6f0e
	;; [unrolled: 1-line block ×3, first 2 shown]
	v_fma_f64 v[82:83], v[82:83], -0.5, v[76:77]
	s_mov_b32 s14, s0
	v_add_f64 v[80:81], v[44:45], v[76:77]
	v_add_f64 v[86:87], v[54:55], -v[58:59]
	v_fma_f64 v[76:77], v[90:91], -0.5, v[76:77]
	v_add_f64 v[88:89], v[88:89], v[92:93]
	s_waitcnt vmcnt(8)
	v_add_f64 v[92:93], v[28:29], v[32:33]
	s_mov_b32 s4, 0x4755a5e
	v_fma_f64 v[94:95], v[84:85], s[0:1], v[82:83]
	v_fma_f64 v[82:83], v[84:85], s[14:15], v[82:83]
	s_mov_b32 s5, 0x3fe2cf23
	s_mov_b32 s11, 0xbfe2cf23
	;; [unrolled: 1-line block ×3, first 2 shown]
	v_fma_f64 v[96:97], v[86:87], s[14:15], v[76:77]
	v_fma_f64 v[76:77], v[86:87], s[0:1], v[76:77]
	v_add_f64 v[98:99], v[52:53], -v[44:45]
	v_fma_f64 v[90:91], v[86:87], s[4:5], v[94:95]
	v_fma_f64 v[82:83], v[86:87], s[10:11], v[82:83]
	s_waitcnt vmcnt(7)
	v_add_f64 v[86:87], v[20:21], v[92:93]
	s_waitcnt vmcnt(6)
	v_add_f64 v[94:95], v[20:21], v[24:25]
	v_add_f64 v[100:101], v[56:57], -v[60:61]
	v_fma_f64 v[96:97], v[84:85], s[4:5], v[96:97]
	v_fma_f64 v[76:77], v[84:85], s[10:11], v[76:77]
	s_waitcnt vmcnt(1)
	v_add_f64 v[102:103], v[12:13], v[0:1]
	v_add_f64 v[106:107], v[32:33], -v[20:21]
	v_add_f64 v[108:109], v[36:37], -v[24:25]
	v_add_f64 v[84:85], v[24:25], v[86:87]
	v_add_f64 v[86:87], v[36:37], v[32:33]
	v_fma_f64 v[92:93], v[94:95], -0.5, v[28:29]
	v_add_f64 v[94:95], v[34:35], -v[38:39]
	v_add_f64 v[98:99], v[98:99], v[100:101]
	v_add_f64 v[100:101], v[22:23], -v[26:27]
	s_mov_b32 s6, 0x372fe950
	s_mov_b32 s7, 0x3fd3c6ef
	v_fma_f64 v[90:91], v[88:89], s[6:7], v[90:91]
	v_fma_f64 v[28:29], v[86:87], -0.5, v[28:29]
	v_fma_f64 v[82:83], v[88:89], s[6:7], v[82:83]
	v_fma_f64 v[88:89], v[94:95], s[0:1], v[92:93]
	;; [unrolled: 1-line block ×4, first 2 shown]
	v_fma_f64 v[98:99], v[102:103], -0.5, v[16:17]
	s_waitcnt vmcnt(0)
	v_add_f64 v[102:103], v[10:11], -v[6:7]
	v_add_f64 v[106:107], v[108:109], v[106:107]
	v_fma_f64 v[92:93], v[94:95], s[14:15], v[92:93]
	v_fma_f64 v[108:109], v[100:101], s[14:15], v[28:29]
	v_add_f64 v[110:111], v[20:21], -v[32:33]
	v_add_f64 v[112:113], v[24:25], -v[36:37]
	v_fma_f64 v[28:29], v[100:101], s[0:1], v[28:29]
	v_fma_f64 v[86:87], v[100:101], s[4:5], v[88:89]
	;; [unrolled: 1-line block ×3, first 2 shown]
	v_add_f64 v[116:117], v[14:15], -v[2:3]
	v_fma_f64 v[92:93], v[100:101], s[10:11], v[92:93]
	v_add_f64 v[100:101], v[8:9], v[4:5]
	v_fma_f64 v[108:109], v[94:95], s[4:5], v[108:109]
	v_add_f64 v[110:111], v[112:113], v[110:111]
	;; [unrolled: 2-line block ×3, first 2 shown]
	v_add_f64 v[118:119], v[8:9], -v[12:13]
	v_add_f64 v[120:121], v[4:5], -v[0:1]
	v_fma_f64 v[94:95], v[116:117], s[4:5], v[114:115]
	v_fma_f64 v[16:17], v[100:101], -0.5, v[16:17]
	v_fma_f64 v[98:99], v[102:103], s[14:15], v[98:99]
	v_fma_f64 v[100:101], v[110:111], s[6:7], v[108:109]
	;; [unrolled: 1-line block ×3, first 2 shown]
	v_add_f64 v[28:29], v[64:65], v[72:73]
	v_add_f64 v[110:111], v[68:69], v[40:41]
	;; [unrolled: 1-line block ×3, first 2 shown]
	v_add_f64 v[108:109], v[12:13], -v[8:9]
	v_add_f64 v[118:119], v[0:1], -v[4:5]
	v_add_f64 v[120:121], v[40:41], v[48:49]
	v_add_f64 v[122:123], v[42:43], -v[70:71]
	v_add_f64 v[124:125], v[74:75], -v[66:67]
	v_fma_f64 v[28:29], v[28:29], -0.5, v[48:49]
	v_fma_f64 v[48:49], v[110:111], -0.5, v[48:49]
	v_add_f64 v[80:81], v[52:53], v[80:81]
	v_add_f64 v[88:89], v[88:89], v[12:13]
	v_fma_f64 v[86:87], v[106:107], s[6:7], v[86:87]
	v_fma_f64 v[92:93], v[106:107], s[6:7], v[92:93]
	;; [unrolled: 1-line block ×4, first 2 shown]
	v_add_f64 v[108:109], v[108:109], v[118:119]
	v_fma_f64 v[16:17], v[116:117], s[0:1], v[16:17]
	v_add_f64 v[110:111], v[72:73], v[120:121]
	v_fma_f64 v[116:117], v[122:123], s[0:1], v[28:29]
	v_add_f64 v[118:119], v[40:41], -v[72:73]
	v_add_f64 v[120:121], v[68:69], -v[64:65]
	v_fma_f64 v[28:29], v[122:123], s[14:15], v[28:29]
	v_fma_f64 v[126:127], v[124:125], s[14:15], v[48:49]
	v_add_f64 v[128:129], v[72:73], -v[40:41]
	v_add_f64 v[130:131], v[64:65], -v[68:69]
	v_fma_f64 v[48:49], v[124:125], s[0:1], v[48:49]
	v_add_f64 v[80:81], v[56:57], v[80:81]
	v_add_f64 v[88:89], v[88:89], v[0:1]
	v_fma_f64 v[106:107], v[102:103], s[4:5], v[106:107]
	v_fma_f64 v[16:17], v[102:103], s[10:11], v[16:17]
	v_add_f64 v[102:103], v[64:65], v[110:111]
	v_fma_f64 v[110:111], v[124:125], s[4:5], v[116:117]
	v_add_f64 v[116:117], v[120:121], v[118:119]
	v_fma_f64 v[118:119], v[124:125], s[10:11], v[28:29]
	v_fma_f64 v[120:121], v[122:123], s[4:5], v[126:127]
	v_add_f64 v[124:125], v[130:131], v[128:129]
	v_fma_f64 v[122:123], v[122:123], s[10:11], v[48:49]
	v_add_f64 v[80:81], v[60:61], v[80:81]
	v_add_f64 v[84:85], v[36:37], v[84:85]
	;; [unrolled: 1-line block ×3, first 2 shown]
	v_fma_f64 v[94:95], v[112:113], s[6:7], v[94:95]
	v_fma_f64 v[98:99], v[112:113], s[6:7], v[98:99]
	;; [unrolled: 1-line block ×4, first 2 shown]
	v_add_f64 v[28:29], v[68:69], v[102:103]
	v_fma_f64 v[106:107], v[116:117], s[6:7], v[110:111]
	v_fma_f64 v[48:49], v[116:117], s[6:7], v[118:119]
	;; [unrolled: 1-line block ×4, first 2 shown]
	v_mad_u32_u24 v17, v133, 40, 0
	v_mad_i32_i24 v16, v134, 40, 0
	v_mad_i32_i24 v116, v135, 40, 0
	v_cmp_gt_u32_e64 s[0:1], 25, v133
	ds_write2_b64 v17, v[80:81], v[90:91] offset1:1
	ds_write2_b64 v17, v[96:97], v[76:77] offset0:2 offset1:3
	ds_write_b64 v17, v[82:83] offset:32
	ds_write2_b64 v16, v[84:85], v[86:87] offset1:1
	ds_write2_b64 v16, v[100:101], v[114:115] offset0:2 offset1:3
	ds_write_b64 v16, v[92:93] offset:32
	;; [unrolled: 3-line block ×3, first 2 shown]
	s_and_saveexec_b64 s[4:5], s[0:1]
	s_cbranch_execz .LBB0_17
; %bb.16:
	v_add_u32_e32 v76, 0x3a98, v17
	ds_write2_b64 v76, v[28:29], v[106:107] offset1:1
	v_add_u32_e32 v76, 0x3aa8, v17
	ds_write2_b64 v76, v[108:109], v[110:111] offset1:1
	ds_write_b64 v17, v[48:49] offset:15032
.LBB0_17:
	s_or_b64 exec, exec, s[4:5]
	v_lshlrev_b32_e32 v76, 5, v133
	v_sub_u32_e32 v136, v17, v76
	v_add_u32_e32 v76, 0xc00, v136
	s_waitcnt lgkmcnt(0)
	s_barrier
	ds_read2_b64 v[92:95], v76 offset0:16 offset1:141
	v_add_u32_e32 v76, 0x1400, v136
	ds_read2_b64 v[80:83], v76 offset0:10 offset1:160
	v_add_u32_e32 v76, 0x2400, v136
	v_add_u32_e32 v77, 0x1c00, v136
	ds_read2_b64 v[96:99], v76 offset0:48 offset1:173
	v_add_u32_e32 v76, 0x2c00, v136
	v_lshlrev_b32_e32 v117, 5, v134
	ds_read2_b64 v[100:103], v77 offset0:29 offset1:154
	v_add_u32_e32 v77, 0x3400, v136
	v_lshlrev_b32_e32 v119, 5, v135
	ds_read2_b64 v[84:87], v76 offset0:42 offset1:192
	v_sub_u32_e32 v76, v16, v117
	ds_read2_b64 v[88:91], v77 offset0:61 offset1:186
	v_sub_u32_e32 v77, v116, v119
	ds_read_b64 v[114:115], v136
	ds_read_b64 v[112:113], v76
	;; [unrolled: 1-line block ×3, first 2 shown]
	s_and_saveexec_b64 s[4:5], s[0:1]
	s_cbranch_execz .LBB0_19
; %bb.18:
	ds_read_b64 v[28:29], v136 offset:3000
	ds_read_b64 v[106:107], v136 offset:6200
	;; [unrolled: 1-line block ×5, first 2 shown]
.LBB0_19:
	s_or_b64 exec, exec, s[4:5]
	v_add_f64 v[120:121], v[46:47], v[78:79]
	v_add_f64 v[122:123], v[54:55], v[58:59]
	v_sub_u32_e32 v118, 0, v117
	v_sub_u32_e32 v117, 0, v119
	v_add_f64 v[44:45], v[44:45], -v[60:61]
	s_mov_b32 s4, 0x134454ff
	s_mov_b32 s5, 0xbfee6f0e
	s_mov_b32 s17, 0x3fee6f0e
	v_add_f64 v[60:61], v[54:55], v[120:121]
	v_fma_f64 v[119:120], v[122:123], -0.5, v[78:79]
	v_add_f64 v[121:122], v[46:47], v[62:63]
	s_mov_b32 s16, s4
	v_add_f64 v[52:53], v[52:53], -v[56:57]
	v_add_f64 v[56:57], v[46:47], -v[54:55]
	;; [unrolled: 1-line block ×3, first 2 shown]
	s_mov_b32 s6, 0x4755a5e
	s_mov_b32 s7, 0xbfe2cf23
	v_fma_f64 v[125:126], v[44:45], s[4:5], v[119:120]
	v_fma_f64 v[78:79], v[121:122], -0.5, v[78:79]
	v_fma_f64 v[119:120], v[44:45], s[16:17], v[119:120]
	s_mov_b32 s15, 0x3fe2cf23
	s_mov_b32 s14, s6
	v_add_f64 v[60:61], v[58:59], v[60:61]
	v_add_f64 v[56:57], v[56:57], v[123:124]
	;; [unrolled: 1-line block ×3, first 2 shown]
	v_fma_f64 v[121:122], v[52:53], s[6:7], v[125:126]
	v_add_f64 v[125:126], v[22:23], v[26:27]
	v_fma_f64 v[127:128], v[52:53], s[16:17], v[78:79]
	v_add_f64 v[46:47], v[54:55], -v[46:47]
	v_add_f64 v[54:55], v[58:59], -v[62:63]
	v_fma_f64 v[58:59], v[52:53], s[14:15], v[119:120]
	s_mov_b32 s10, 0x372fe950
	s_mov_b32 s11, 0x3fd3c6ef
	v_add_f64 v[60:61], v[62:63], v[60:61]
	v_fma_f64 v[52:53], v[52:53], s[4:5], v[78:79]
	v_add_f64 v[62:63], v[22:23], v[123:124]
	v_fma_f64 v[78:79], v[125:126], -0.5, v[30:31]
	v_add_f64 v[32:33], v[32:33], -v[36:37]
	v_fma_f64 v[36:37], v[44:45], s[6:7], v[127:128]
	v_add_f64 v[46:47], v[46:47], v[54:55]
	v_fma_f64 v[54:55], v[56:57], s[10:11], v[121:122]
	v_fma_f64 v[56:57], v[56:57], s[10:11], v[58:59]
	v_add_f64 v[58:59], v[38:39], v[34:35]
	v_fma_f64 v[44:45], v[44:45], s[14:15], v[52:53]
	v_add_f64 v[52:53], v[26:27], v[62:63]
	v_fma_f64 v[62:63], v[32:33], s[4:5], v[78:79]
	v_add_f64 v[20:21], v[20:21], -v[24:25]
	v_fma_f64 v[119:120], v[46:47], s[10:11], v[36:37]
	v_add_f64 v[36:37], v[34:35], -v[22:23]
	v_add_f64 v[121:122], v[38:39], -v[26:27]
	v_fma_f64 v[30:31], v[58:59], -0.5, v[30:31]
	v_add_f64 v[58:59], v[18:19], v[10:11]
	v_add_f64 v[24:25], v[14:15], v[2:3]
	v_fma_f64 v[44:45], v[46:47], s[10:11], v[44:45]
	v_fma_f64 v[46:47], v[20:21], s[6:7], v[62:63]
	v_add_f64 v[4:5], v[8:9], -v[4:5]
	v_add_f64 v[22:23], v[22:23], -v[34:35]
	v_add_f64 v[8:9], v[121:122], v[36:37]
	v_fma_f64 v[36:37], v[32:33], s[16:17], v[78:79]
	v_fma_f64 v[62:63], v[20:21], s[16:17], v[30:31]
	v_add_f64 v[26:27], v[26:27], -v[38:39]
	v_fma_f64 v[30:31], v[20:21], s[4:5], v[30:31]
	v_add_f64 v[34:35], v[58:59], v[14:15]
	v_fma_f64 v[24:25], v[24:25], -0.5, v[18:19]
	v_add_f64 v[0:1], v[12:13], -v[0:1]
	v_add_f64 v[12:13], v[10:11], -v[14:15]
	;; [unrolled: 1-line block ×3, first 2 shown]
	v_fma_f64 v[20:21], v[20:21], s[14:15], v[36:37]
	v_fma_f64 v[62:63], v[32:33], s[6:7], v[62:63]
	v_add_f64 v[22:23], v[26:27], v[22:23]
	v_fma_f64 v[26:27], v[32:33], s[14:15], v[30:31]
	v_add_f64 v[30:31], v[34:35], v[2:3]
	v_add_f64 v[52:53], v[38:39], v[52:53]
	v_fma_f64 v[38:39], v[4:5], s[4:5], v[24:25]
	v_add_f64 v[36:37], v[10:11], v[6:7]
	v_add_f64 v[12:13], v[12:13], v[58:59]
	v_fma_f64 v[58:59], v[8:9], s[10:11], v[46:47]
	v_fma_f64 v[8:9], v[8:9], s[10:11], v[20:21]
	;; [unrolled: 1-line block ×4, first 2 shown]
	v_add_f64 v[26:27], v[30:31], v[6:7]
	v_add_f64 v[30:31], v[66:67], v[74:75]
	v_add_f64 v[10:11], v[14:15], -v[10:11]
	v_add_f64 v[14:15], v[70:71], v[42:43]
	v_fma_f64 v[32:33], v[0:1], s[6:7], v[38:39]
	v_fma_f64 v[18:19], v[36:37], -0.5, v[18:19]
	v_fma_f64 v[24:25], v[4:5], s[16:17], v[24:25]
	v_add_f64 v[2:3], v[2:3], -v[6:7]
	v_add_f64 v[6:7], v[42:43], v[50:51]
	v_fma_f64 v[30:31], v[30:31], -0.5, v[50:51]
	v_add_f64 v[36:37], v[40:41], -v[68:69]
	v_add_f64 v[38:39], v[72:73], -v[64:65]
	v_fma_f64 v[14:15], v[14:15], -0.5, v[50:51]
	v_fma_f64 v[34:35], v[0:1], s[16:17], v[18:19]
	v_fma_f64 v[24:25], v[0:1], s[14:15], v[24:25]
	v_add_f64 v[2:3], v[10:11], v[2:3]
	v_fma_f64 v[0:1], v[0:1], s[4:5], v[18:19]
	v_add_f64 v[6:7], v[74:75], v[6:7]
	v_fma_f64 v[10:11], v[36:37], s[4:5], v[30:31]
	v_add_f64 v[18:19], v[42:43], -v[74:75]
	v_add_f64 v[40:41], v[70:71], -v[66:67]
	v_fma_f64 v[30:31], v[36:37], s[16:17], v[30:31]
	v_fma_f64 v[46:47], v[38:39], s[16:17], v[14:15]
	v_add_f64 v[42:43], v[74:75], -v[42:43]
	v_add_f64 v[50:51], v[66:67], -v[70:71]
	v_fma_f64 v[14:15], v[38:39], s[4:5], v[14:15]
	v_fma_f64 v[34:35], v[4:5], s[6:7], v[34:35]
	;; [unrolled: 1-line block ×3, first 2 shown]
	v_add_f64 v[4:5], v[66:67], v[6:7]
	v_fma_f64 v[6:7], v[38:39], s[6:7], v[10:11]
	v_add_f64 v[10:11], v[40:41], v[18:19]
	v_fma_f64 v[18:19], v[38:39], s[14:15], v[30:31]
	v_fma_f64 v[30:31], v[36:37], s[6:7], v[46:47]
	v_add_f64 v[40:41], v[50:51], v[42:43]
	v_fma_f64 v[14:15], v[36:37], s[14:15], v[14:15]
	v_fma_f64 v[32:33], v[12:13], s[10:11], v[32:33]
	;; [unrolled: 1-line block ×4, first 2 shown]
	v_add_f64 v[24:25], v[70:71], v[4:5]
	v_fma_f64 v[34:35], v[10:11], s[10:11], v[6:7]
	v_fma_f64 v[38:39], v[10:11], s[10:11], v[18:19]
	;; [unrolled: 1-line block ×5, first 2 shown]
	v_add_u32_e32 v139, 0x177, v133
	s_waitcnt lgkmcnt(0)
	s_barrier
	ds_write2_b64 v17, v[60:61], v[54:55] offset1:1
	ds_write2_b64 v17, v[119:120], v[44:45] offset0:2 offset1:3
	ds_write_b64 v17, v[56:57] offset:32
	ds_write2_b64 v16, v[52:53], v[58:59] offset1:1
	ds_write2_b64 v16, v[20:21], v[22:23] offset0:2 offset1:3
	ds_write_b64 v16, v[8:9] offset:32
	;; [unrolled: 3-line block ×3, first 2 shown]
	s_and_saveexec_b64 s[4:5], s[0:1]
	s_cbranch_execz .LBB0_21
; %bb.20:
	v_mad_u32_u24 v0, v139, 40, 0
	ds_write2_b64 v0, v[24:25], v[34:35] offset1:1
	ds_write2_b64 v0, v[36:37], v[46:47] offset0:2 offset1:3
	ds_write_b64 v0, v[38:39] offset:32
.LBB0_21:
	s_or_b64 exec, exec, s[4:5]
	v_add_u32_e32 v0, 0xc00, v136
	v_add_u32_e32 v4, 0x2400, v136
	;; [unrolled: 1-line block ×3, first 2 shown]
	s_waitcnt lgkmcnt(0)
	s_barrier
	ds_read2_b64 v[12:15], v0 offset0:16 offset1:141
	v_add_u32_e32 v0, 0x1400, v136
	ds_read2_b64 v[20:23], v4 offset0:48 offset1:173
	v_add_u32_e32 v4, 0x2c00, v136
	v_add_u32_e32 v137, v16, v118
	ds_read2_b64 v[16:19], v8 offset0:29 offset1:154
	v_add_u32_e32 v8, 0x3400, v136
	ds_read2_b64 v[0:3], v0 offset0:10 offset1:160
	ds_read2_b64 v[4:7], v4 offset0:42 offset1:192
	;; [unrolled: 1-line block ×3, first 2 shown]
	v_add_u32_e32 v138, v116, v117
	ds_read_b64 v[32:33], v136
	ds_read_b64 v[30:31], v137
	;; [unrolled: 1-line block ×3, first 2 shown]
	s_and_saveexec_b64 s[4:5], s[0:1]
	s_cbranch_execz .LBB0_23
; %bb.22:
	ds_read_b64 v[24:25], v136 offset:3000
	ds_read_b64 v[34:35], v136 offset:6200
	;; [unrolled: 1-line block ×5, first 2 shown]
.LBB0_23:
	s_or_b64 exec, exec, s[4:5]
	s_movk_i32 s4, 0xcd
	v_mul_lo_u16_sdwa v40, v133, s4 dst_sel:DWORD dst_unused:UNUSED_PAD src0_sel:BYTE_0 src1_sel:DWORD
	v_lshrrev_b16_e32 v52, 10, v40
	v_mul_lo_u16_e32 v40, 5, v52
	v_sub_u16_e32 v53, v133, v40
	v_mov_b32_e32 v44, 6
	v_lshlrev_b32_sdwa v45, v44, v53 dst_sel:DWORD dst_unused:UNUSED_PAD src0_sel:DWORD src1_sel:BYTE_0
	global_load_dwordx4 v[40:43], v45, s[8:9] offset:48
	global_load_dwordx4 v[54:57], v45, s[8:9] offset:32
	;; [unrolled: 1-line block ×3, first 2 shown]
	global_load_dwordx4 v[62:65], v45, s[8:9]
	v_mul_lo_u16_sdwa v45, v134, s4 dst_sel:DWORD dst_unused:UNUSED_PAD src0_sel:BYTE_0 src1_sel:DWORD
	v_lshrrev_b16_e32 v204, 10, v45
	v_mul_lo_u16_e32 v45, 5, v204
	v_sub_u16_e32 v205, v134, v45
	v_lshlrev_b32_sdwa v44, v44, v205 dst_sel:DWORD dst_unused:UNUSED_PAD src0_sel:DWORD src1_sel:BYTE_0
	s_mov_b32 s4, 0xcccd
	global_load_dwordx4 v[66:69], v44, s[8:9] offset:48
	global_load_dwordx4 v[70:73], v44, s[8:9] offset:32
	;; [unrolled: 1-line block ×3, first 2 shown]
	global_load_dwordx4 v[144:147], v44, s[8:9]
	v_mul_u32_u24_sdwa v44, v135, s4 dst_sel:DWORD dst_unused:UNUSED_PAD src0_sel:WORD_0 src1_sel:DWORD
	v_lshrrev_b32_e32 v206, 18, v44
	v_mul_lo_u16_e32 v44, 5, v206
	v_sub_u16_e32 v207, v135, v44
	v_lshlrev_b32_e32 v44, 6, v207
	global_load_dwordx4 v[148:151], v44, s[8:9] offset:16
	global_load_dwordx4 v[152:155], v44, s[8:9]
	global_load_dwordx4 v[156:159], v44, s[8:9] offset:48
	global_load_dwordx4 v[160:163], v44, s[8:9] offset:32
	v_mul_u32_u24_sdwa v44, v139, s4 dst_sel:DWORD dst_unused:UNUSED_PAD src0_sel:WORD_0 src1_sel:DWORD
	v_lshrrev_b32_e32 v208, 18, v44
	v_mul_lo_u16_e32 v44, 5, v208
	v_sub_u16_e32 v209, v139, v44
	v_lshlrev_b32_e32 v44, 6, v209
	global_load_dwordx4 v[164:167], v44, s[8:9]
	global_load_dwordx4 v[168:171], v44, s[8:9] offset:16
	global_load_dwordx4 v[172:175], v44, s[8:9] offset:32
	;; [unrolled: 1-line block ×3, first 2 shown]
	s_mov_b32 s4, 0x134454ff
	s_mov_b32 s5, 0x3fee6f0e
	;; [unrolled: 1-line block ×10, first 2 shown]
	s_waitcnt vmcnt(0) lgkmcnt(0)
	s_barrier
	v_mul_f64 v[78:79], v[6:7], v[42:43]
	v_mul_f64 v[74:75], v[20:21], v[56:57]
	v_mul_f64 v[56:57], v[96:97], v[56:57]
	v_mul_f64 v[44:45], v[12:13], v[64:65]
	v_mul_f64 v[50:51], v[92:93], v[64:65]
	v_mul_f64 v[64:65], v[2:3], v[60:61]
	v_mul_f64 v[60:61], v[82:83], v[60:61]
	v_mul_f64 v[42:43], v[86:87], v[42:43]
	v_mul_f64 v[186:187], v[8:9], v[68:69]
	v_mul_f64 v[68:69], v[88:89], v[68:69]
	v_fma_f64 v[126:127], v[96:97], v[54:55], -v[74:75]
	v_fma_f64 v[128:129], v[92:93], v[62:63], -v[44:45]
	;; [unrolled: 1-line block ×4, first 2 shown]
	v_fma_f64 v[116:117], v[12:13], v[62:63], v[50:51]
	v_fma_f64 v[118:119], v[2:3], v[58:59], v[60:61]
	v_mul_f64 v[192:193], v[4:5], v[162:163]
	v_mul_f64 v[162:163], v[84:85], v[162:163]
	v_fma_f64 v[120:121], v[20:21], v[54:55], v[56:57]
	v_fma_f64 v[122:123], v[6:7], v[40:41], v[42:43]
	v_fma_f64 v[86:87], v[8:9], v[66:67], v[68:69]
	v_add_f64 v[2:3], v[124:125], v[126:127]
	v_add_f64 v[8:9], v[128:129], v[130:131]
	v_mul_f64 v[180:181], v[14:15], v[146:147]
	v_mul_f64 v[146:147], v[94:95], v[146:147]
	;; [unrolled: 1-line block ×9, first 2 shown]
	v_fma_f64 v[40:41], v[4:5], v[160:161], v[162:163]
	v_add_f64 v[4:5], v[116:117], -v[122:123]
	v_fma_f64 v[2:3], v[2:3], -0.5, v[114:115]
	v_add_f64 v[12:13], v[118:119], -v[120:121]
	v_fma_f64 v[8:9], v[8:9], -0.5, v[114:115]
	v_mul_f64 v[142:143], v[100:101], v[142:143]
	v_fma_f64 v[96:97], v[94:95], v[144:145], -v[180:181]
	v_fma_f64 v[74:75], v[14:15], v[144:145], v[146:147]
	v_fma_f64 v[92:93], v[100:101], v[140:141], -v[182:183]
	v_fma_f64 v[94:95], v[98:99], v[70:71], -v[184:185]
	v_fma_f64 v[82:83], v[22:23], v[70:71], v[72:73]
	v_fma_f64 v[98:99], v[88:89], v[66:67], -v[186:187]
	v_fma_f64 v[70:71], v[18:19], v[148:149], v[150:151]
	v_fma_f64 v[50:51], v[10:11], v[156:157], v[158:159]
	v_add_f64 v[6:7], v[128:129], -v[124:125]
	v_add_f64 v[10:11], v[130:131], -v[126:127]
	v_fma_f64 v[14:15], v[4:5], s[4:5], v[2:3]
	v_fma_f64 v[18:19], v[12:13], s[14:15], v[8:9]
	;; [unrolled: 1-line block ×3, first 2 shown]
	v_mul_f64 v[188:189], v[0:1], v[154:155]
	v_fma_f64 v[78:79], v[16:17], v[140:141], v[142:143]
	v_fma_f64 v[2:3], v[4:5], s[14:15], v[2:3]
	v_add_f64 v[16:17], v[92:93], v[94:95]
	v_add_f64 v[6:7], v[6:7], v[10:11]
	v_fma_f64 v[10:11], v[12:13], s[10:11], v[14:15]
	v_add_f64 v[14:15], v[112:113], v[96:97]
	v_add_f64 v[20:21], v[124:125], -v[128:129]
	v_add_f64 v[22:23], v[126:127], -v[130:131]
	v_fma_f64 v[18:19], v[4:5], s[10:11], v[18:19]
	v_fma_f64 v[4:5], v[4:5], s[16:17], v[8:9]
	v_add_f64 v[8:9], v[96:97], v[98:99]
	v_mul_f64 v[154:155], v[80:81], v[154:155]
	v_mul_f64 v[202:203], v[38:39], v[178:179]
	v_fma_f64 v[88:89], v[80:81], v[152:153], -v[188:189]
	v_fma_f64 v[80:81], v[102:103], v[148:149], -v[190:191]
	;; [unrolled: 1-line block ×3, first 2 shown]
	v_fma_f64 v[2:3], v[12:13], s[16:17], v[2:3]
	v_add_f64 v[12:13], v[14:15], v[92:93]
	v_fma_f64 v[14:15], v[16:17], -0.5, v[112:113]
	v_add_f64 v[16:17], v[74:75], -v[86:87]
	v_add_f64 v[20:21], v[20:21], v[22:23]
	v_add_f64 v[22:23], v[78:79], -v[82:83]
	v_add_f64 v[54:55], v[96:97], -v[92:93]
	;; [unrolled: 1-line block ×3, first 2 shown]
	v_fma_f64 v[8:9], v[8:9], -0.5, v[112:113]
	v_mul_f64 v[196:197], v[34:35], v[166:167]
	v_mul_f64 v[198:199], v[36:37], v[170:171]
	;; [unrolled: 1-line block ×4, first 2 shown]
	v_fma_f64 v[68:69], v[0:1], v[152:153], v[154:155]
	v_fma_f64 v[90:91], v[90:91], v[156:157], -v[194:195]
	v_fma_f64 v[72:73], v[48:49], v[176:177], -v[202:203]
	v_fma_f64 v[10:11], v[6:7], s[6:7], v[10:11]
	v_fma_f64 v[2:3], v[6:7], s[6:7], v[2:3]
	v_add_f64 v[6:7], v[12:13], v[94:95]
	v_fma_f64 v[12:13], v[16:17], s[4:5], v[14:15]
	v_add_f64 v[48:49], v[80:81], v[84:85]
	v_add_f64 v[54:55], v[54:55], v[56:57]
	v_fma_f64 v[14:15], v[16:17], s[14:15], v[14:15]
	v_fma_f64 v[56:57], v[22:23], s[14:15], v[8:9]
	v_add_f64 v[62:63], v[92:93], -v[96:97]
	v_add_f64 v[64:65], v[94:95], -v[98:99]
	v_mul_f64 v[166:167], v[106:107], v[166:167]
	v_mul_f64 v[170:171], v[108:109], v[170:171]
	;; [unrolled: 1-line block ×3, first 2 shown]
	v_fma_f64 v[44:45], v[106:107], v[164:165], -v[196:197]
	v_fma_f64 v[42:43], v[108:109], v[168:169], -v[198:199]
	v_fma_f64 v[60:61], v[110:111], v[172:173], -v[200:201]
	v_fma_f64 v[18:19], v[20:21], s[6:7], v[18:19]
	v_fma_f64 v[4:5], v[20:21], s[6:7], v[4:5]
	;; [unrolled: 1-line block ×3, first 2 shown]
	v_add_f64 v[20:21], v[76:77], v[88:89]
	v_fma_f64 v[48:49], v[48:49], -0.5, v[76:77]
	v_add_f64 v[58:59], v[68:69], -v[50:51]
	v_fma_f64 v[8:9], v[22:23], s[4:5], v[8:9]
	v_fma_f64 v[14:15], v[22:23], s[16:17], v[14:15]
	v_add_f64 v[22:23], v[88:89], v[90:91]
	v_fma_f64 v[56:57], v[16:17], s[10:11], v[56:57]
	v_add_f64 v[62:63], v[62:63], v[64:65]
	v_fma_f64 v[34:35], v[34:35], v[164:165], v[166:167]
	v_fma_f64 v[36:37], v[36:37], v[168:169], v[170:171]
	;; [unrolled: 1-line block ×4, first 2 shown]
	v_add_f64 v[20:21], v[20:21], v[80:81]
	v_fma_f64 v[66:67], v[58:59], s[4:5], v[48:49]
	v_add_f64 v[100:101], v[70:71], -v[40:41]
	v_add_f64 v[102:103], v[88:89], -v[80:81]
	;; [unrolled: 1-line block ×3, first 2 shown]
	v_fma_f64 v[12:13], v[54:55], s[6:7], v[12:13]
	v_fma_f64 v[22:23], v[22:23], -0.5, v[76:77]
	v_fma_f64 v[14:15], v[54:55], s[6:7], v[14:15]
	v_fma_f64 v[54:55], v[62:63], s[6:7], v[56:57]
	v_add_f64 v[56:57], v[42:43], v[60:61]
	v_add_f64 v[76:77], v[44:45], v[72:73]
	;; [unrolled: 1-line block ×3, first 2 shown]
	v_fma_f64 v[8:9], v[16:17], s[16:17], v[8:9]
	v_add_f64 v[16:17], v[20:21], v[84:85]
	v_fma_f64 v[20:21], v[100:101], s[10:11], v[66:67]
	v_add_f64 v[64:65], v[102:103], v[106:107]
	v_fma_f64 v[48:49], v[58:59], s[14:15], v[48:49]
	v_add_f64 v[66:67], v[80:81], -v[88:89]
	v_add_f64 v[102:103], v[84:85], -v[90:91]
	v_add_f64 v[106:107], v[28:29], v[44:45]
	v_fma_f64 v[56:57], v[56:57], -0.5, v[28:29]
	v_add_f64 v[108:109], v[34:35], -v[38:39]
	v_add_f64 v[110:111], v[36:37], -v[46:47]
	v_fma_f64 v[28:29], v[76:77], -0.5, v[28:29]
	v_add_f64 v[0:1], v[0:1], v[124:125]
	v_fma_f64 v[8:9], v[62:63], s[6:7], v[8:9]
	v_fma_f64 v[62:63], v[100:101], s[14:15], v[22:23]
	;; [unrolled: 1-line block ×3, first 2 shown]
	v_add_f64 v[66:67], v[66:67], v[102:103]
	v_fma_f64 v[22:23], v[100:101], s[4:5], v[22:23]
	v_add_f64 v[76:77], v[106:107], v[42:43]
	v_fma_f64 v[100:101], v[108:109], s[4:5], v[56:57]
	v_add_f64 v[102:103], v[44:45], -v[42:43]
	v_add_f64 v[106:107], v[72:73], -v[60:61]
	v_fma_f64 v[56:57], v[108:109], s[14:15], v[56:57]
	v_fma_f64 v[112:113], v[110:111], s[14:15], v[28:29]
	v_add_f64 v[114:115], v[42:43], -v[44:45]
	v_add_f64 v[140:141], v[60:61], -v[72:73]
	v_fma_f64 v[28:29], v[110:111], s[4:5], v[28:29]
	v_add_f64 v[0:1], v[0:1], v[126:127]
	v_fma_f64 v[62:63], v[58:59], s[10:11], v[62:63]
	v_fma_f64 v[22:23], v[58:59], s[16:17], v[22:23]
	v_add_f64 v[58:59], v[76:77], v[60:61]
	v_fma_f64 v[76:77], v[110:111], s[10:11], v[100:101]
	v_add_f64 v[100:101], v[102:103], v[106:107]
	v_fma_f64 v[56:57], v[110:111], s[16:17], v[56:57]
	v_fma_f64 v[102:103], v[108:109], s[10:11], v[112:113]
	v_add_f64 v[106:107], v[114:115], v[140:141]
	v_fma_f64 v[28:29], v[108:109], s[16:17], v[28:29]
	v_add_f64 v[0:1], v[0:1], v[130:131]
	v_add_f64 v[6:7], v[6:7], v[98:99]
	;; [unrolled: 1-line block ×3, first 2 shown]
	v_fma_f64 v[20:21], v[64:65], s[6:7], v[20:21]
	v_fma_f64 v[108:109], v[64:65], s[6:7], v[48:49]
	;; [unrolled: 1-line block ×4, first 2 shown]
	v_add_f64 v[48:49], v[58:59], v[72:73]
	v_fma_f64 v[66:67], v[100:101], s[6:7], v[76:77]
	v_fma_f64 v[56:57], v[100:101], s[6:7], v[56:57]
	;; [unrolled: 1-line block ×4, first 2 shown]
	v_mov_b32_e32 v29, 3
	v_mul_u32_u24_e32 v28, 0xc8, v52
	v_lshlrev_b32_sdwa v52, v29, v53 dst_sel:DWORD dst_unused:UNUSED_PAD src0_sel:DWORD src1_sel:BYTE_0
	v_add3_u32 v28, 0, v28, v52
	ds_write2_b64 v28, v[0:1], v[10:11] offset1:5
	ds_write2_b64 v28, v[18:19], v[4:5] offset0:10 offset1:15
	ds_write_b64 v28, v[2:3] offset:160
	v_mul_u32_u24_e32 v0, 0xc8, v204
	v_lshlrev_b32_sdwa v1, v29, v205 dst_sel:DWORD dst_unused:UNUSED_PAD src0_sel:DWORD src1_sel:BYTE_0
	v_add3_u32 v29, 0, v0, v1
	v_mul_u32_u24_e32 v0, 0xc8, v206
	v_lshlrev_b32_e32 v1, 3, v207
	v_add3_u32 v103, 0, v0, v1
	v_mul_lo_u16_e32 v101, 25, v208
	v_lshlrev_b32_e32 v102, 3, v209
	ds_write2_b64 v29, v[6:7], v[12:13] offset1:5
	ds_write2_b64 v29, v[54:55], v[8:9] offset0:10 offset1:15
	ds_write_b64 v29, v[14:15] offset:160
	ds_write2_b64 v103, v[16:17], v[20:21] offset1:5
	ds_write2_b64 v103, v[62:63], v[22:23] offset0:10 offset1:15
	ds_write_b64 v103, v[108:109] offset:160
	s_and_saveexec_b64 s[4:5], s[0:1]
	s_cbranch_execz .LBB0_25
; %bb.24:
	v_lshlrev_b32_e32 v0, 3, v101
	v_add3_u32 v0, 0, v102, v0
	ds_write2_b64 v0, v[48:49], v[66:67] offset1:5
	ds_write2_b64 v0, v[64:65], v[58:59] offset0:10 offset1:15
	ds_write_b64 v0, v[56:57] offset:160
.LBB0_25:
	s_or_b64 exec, exec, s[4:5]
	v_add_u32_e32 v0, 0xc00, v136
	s_waitcnt lgkmcnt(0)
	s_barrier
	ds_read2_b64 v[16:19], v0 offset0:16 offset1:141
	v_add_u32_e32 v0, 0x1400, v136
	ds_read2_b64 v[4:7], v0 offset0:10 offset1:160
	v_add_u32_e32 v0, 0x2400, v136
	v_add_u32_e32 v8, 0x1c00, v136
	ds_read2_b64 v[20:23], v0 offset0:48 offset1:173
	v_add_u32_e32 v0, 0x2c00, v136
	ds_read2_b64 v[12:15], v8 offset0:29 offset1:154
	;; [unrolled: 2-line block ×3, first 2 shown]
	ds_read2_b64 v[8:11], v8 offset0:61 offset1:186
	ds_read_b64 v[62:63], v136
	ds_read_b64 v[54:55], v137
	;; [unrolled: 1-line block ×3, first 2 shown]
	v_lshl_add_u32 v100, v133, 3, 0
	s_and_saveexec_b64 s[4:5], s[0:1]
	s_cbranch_execz .LBB0_27
; %bb.26:
	ds_read_b64 v[48:49], v100 offset:3000
	ds_read_b64 v[66:67], v136 offset:6200
	;; [unrolled: 1-line block ×5, first 2 shown]
.LBB0_27:
	s_or_b64 exec, exec, s[4:5]
	v_add_f64 v[76:77], v[32:33], v[116:117]
	v_add_f64 v[106:107], v[118:119], v[120:121]
	v_add_f64 v[108:109], v[128:129], -v[130:131]
	v_add_f64 v[114:115], v[116:117], v[122:123]
	s_mov_b32 s4, 0x134454ff
	s_mov_b32 s5, 0xbfee6f0e
	v_add_f64 v[110:111], v[124:125], -v[126:127]
	v_add_f64 v[112:113], v[116:117], -v[118:119]
	v_add_f64 v[76:77], v[76:77], v[118:119]
	v_fma_f64 v[106:107], v[106:107], -0.5, v[32:33]
	v_add_f64 v[124:125], v[122:123], -v[120:121]
	v_fma_f64 v[32:33], v[114:115], -0.5, v[32:33]
	s_mov_b32 s6, 0x4755a5e
	s_mov_b32 s7, 0xbfe2cf23
	;; [unrolled: 1-line block ×4, first 2 shown]
	v_add_f64 v[76:77], v[76:77], v[120:121]
	v_fma_f64 v[126:127], v[108:109], s[4:5], v[106:107]
	v_add_f64 v[112:113], v[112:113], v[124:125]
	v_fma_f64 v[106:107], v[108:109], s[16:17], v[106:107]
	;; [unrolled: 2-line block ×3, first 2 shown]
	v_add_f64 v[116:117], v[118:119], -v[116:117]
	v_add_f64 v[118:119], v[120:121], -v[122:123]
	v_add_f64 v[114:115], v[76:77], v[122:123]
	v_fma_f64 v[76:77], v[110:111], s[6:7], v[126:127]
	v_add_f64 v[126:127], v[78:79], v[82:83]
	v_fma_f64 v[32:33], v[110:111], s[4:5], v[32:33]
	s_mov_b32 s15, 0x3fe2cf23
	s_mov_b32 s14, s6
	v_fma_f64 v[106:107], v[110:111], s[14:15], v[106:107]
	v_add_f64 v[110:111], v[124:125], v[78:79]
	v_add_f64 v[96:97], v[96:97], -v[98:99]
	v_fma_f64 v[98:99], v[108:109], s[6:7], v[128:129]
	v_fma_f64 v[120:121], v[126:127], -0.5, v[30:31]
	v_add_f64 v[116:117], v[116:117], v[118:119]
	v_fma_f64 v[32:33], v[108:109], s[14:15], v[32:33]
	v_add_f64 v[108:109], v[74:75], v[86:87]
	s_mov_b32 s10, 0x372fe950
	s_mov_b32 s11, 0x3fd3c6ef
	v_fma_f64 v[118:119], v[112:113], s[10:11], v[76:77]
	v_fma_f64 v[106:107], v[112:113], s[10:11], v[106:107]
	v_add_f64 v[76:77], v[110:111], v[82:83]
	v_fma_f64 v[110:111], v[96:97], s[4:5], v[120:121]
	v_add_f64 v[92:93], v[92:93], -v[94:95]
	v_fma_f64 v[94:95], v[116:117], s[10:11], v[98:99]
	v_add_f64 v[98:99], v[70:71], v[40:41]
	v_add_f64 v[112:113], v[74:75], -v[78:79]
	v_add_f64 v[122:123], v[86:87], -v[82:83]
	v_fma_f64 v[30:31], v[108:109], -0.5, v[30:31]
	v_fma_f64 v[32:33], v[116:117], s[10:11], v[32:33]
	v_add_f64 v[108:109], v[76:77], v[86:87]
	v_fma_f64 v[76:77], v[92:93], s[6:7], v[110:111]
	v_add_f64 v[110:111], v[26:27], v[68:69]
	v_fma_f64 v[98:99], v[98:99], -0.5, v[26:27]
	v_add_f64 v[88:89], v[88:89], -v[90:91]
	v_add_f64 v[90:91], v[112:113], v[122:123]
	v_fma_f64 v[112:113], v[96:97], s[16:17], v[120:121]
	v_fma_f64 v[116:117], v[92:93], s[16:17], v[30:31]
	v_add_f64 v[74:75], v[78:79], -v[74:75]
	v_add_f64 v[78:79], v[82:83], -v[86:87]
	v_fma_f64 v[30:31], v[92:93], s[4:5], v[30:31]
	v_add_f64 v[82:83], v[110:111], v[70:71]
	v_fma_f64 v[86:87], v[88:89], s[4:5], v[98:99]
	v_add_f64 v[80:81], v[80:81], -v[84:85]
	v_fma_f64 v[92:93], v[92:93], s[14:15], v[112:113]
	v_add_f64 v[112:113], v[68:69], v[50:51]
	v_fma_f64 v[116:117], v[96:97], s[6:7], v[116:117]
	v_add_f64 v[74:75], v[74:75], v[78:79]
	v_fma_f64 v[30:31], v[96:97], s[14:15], v[30:31]
	v_add_f64 v[84:85], v[68:69], -v[70:71]
	v_add_f64 v[78:79], v[82:83], v[40:41]
	v_fma_f64 v[82:83], v[80:81], s[6:7], v[86:87]
	v_fma_f64 v[86:87], v[90:91], s[10:11], v[76:77]
	v_fma_f64 v[26:27], v[112:113], -0.5, v[26:27]
	v_fma_f64 v[90:91], v[90:91], s[10:11], v[92:93]
	v_fma_f64 v[92:93], v[74:75], s[10:11], v[116:117]
	;; [unrolled: 1-line block ×3, first 2 shown]
	v_add_f64 v[74:75], v[36:37], v[46:47]
	v_add_f64 v[68:69], v[70:71], -v[68:69]
	v_add_f64 v[70:71], v[34:35], v[38:39]
	v_add_f64 v[110:111], v[50:51], -v[40:41]
	v_add_f64 v[96:97], v[78:79], v[50:51]
	v_fma_f64 v[76:77], v[88:89], s[16:17], v[98:99]
	v_fma_f64 v[78:79], v[80:81], s[16:17], v[26:27]
	v_add_f64 v[40:41], v[40:41], -v[50:51]
	v_add_f64 v[50:51], v[24:25], v[34:35]
	v_fma_f64 v[74:75], v[74:75], -0.5, v[24:25]
	v_add_f64 v[44:45], v[44:45], -v[72:73]
	v_add_f64 v[42:43], v[42:43], -v[60:61]
	v_fma_f64 v[24:25], v[70:71], -0.5, v[24:25]
	v_fma_f64 v[72:73], v[80:81], s[14:15], v[76:77]
	v_fma_f64 v[76:77], v[88:89], s[6:7], v[78:79]
	v_add_f64 v[40:41], v[68:69], v[40:41]
	v_add_f64 v[50:51], v[50:51], v[36:37]
	v_add_f64 v[68:69], v[34:35], -v[36:37]
	v_fma_f64 v[60:61], v[44:45], s[4:5], v[74:75]
	v_add_f64 v[70:71], v[38:39], -v[46:47]
	v_fma_f64 v[74:75], v[44:45], s[16:17], v[74:75]
	v_fma_f64 v[78:79], v[42:43], s[16:17], v[24:25]
	v_add_f64 v[34:35], v[36:37], -v[34:35]
	v_add_f64 v[36:37], v[46:47], -v[38:39]
	v_fma_f64 v[24:25], v[42:43], s[4:5], v[24:25]
	v_fma_f64 v[26:27], v[80:81], s[4:5], v[26:27]
	v_add_f64 v[84:85], v[84:85], v[110:111]
	v_add_f64 v[46:47], v[50:51], v[46:47]
	v_fma_f64 v[60:61], v[42:43], s[6:7], v[60:61]
	v_add_f64 v[68:69], v[68:69], v[70:71]
	v_fma_f64 v[42:43], v[42:43], s[14:15], v[74:75]
	v_fma_f64 v[70:71], v[44:45], s[6:7], v[78:79]
	v_add_f64 v[34:35], v[34:35], v[36:37]
	v_fma_f64 v[24:25], v[44:45], s[14:15], v[24:25]
	v_fma_f64 v[26:27], v[88:89], s[14:15], v[26:27]
	v_fma_f64 v[36:37], v[84:85], s[10:11], v[72:73]
	v_fma_f64 v[44:45], v[40:41], s[10:11], v[76:77]
	v_add_f64 v[50:51], v[46:47], v[38:39]
	v_fma_f64 v[76:77], v[68:69], s[10:11], v[60:61]
	v_fma_f64 v[72:73], v[68:69], s[10:11], v[42:43]
	;; [unrolled: 1-line block ×6, first 2 shown]
	s_waitcnt lgkmcnt(0)
	s_barrier
	ds_write2_b64 v28, v[114:115], v[118:119] offset1:5
	ds_write2_b64 v28, v[94:95], v[32:33] offset0:10 offset1:15
	ds_write_b64 v28, v[106:107] offset:160
	ds_write2_b64 v29, v[108:109], v[86:87] offset1:5
	ds_write2_b64 v29, v[92:93], v[30:31] offset0:10 offset1:15
	ds_write_b64 v29, v[90:91] offset:160
	;; [unrolled: 3-line block ×3, first 2 shown]
	s_and_saveexec_b64 s[4:5], s[0:1]
	s_cbranch_execz .LBB0_29
; %bb.28:
	v_lshlrev_b32_e32 v24, 3, v101
	v_add3_u32 v24, 0, v102, v24
	ds_write2_b64 v24, v[50:51], v[76:77] offset1:5
	ds_write2_b64 v24, v[78:79], v[74:75] offset0:10 offset1:15
	ds_write_b64 v24, v[72:73] offset:160
.LBB0_29:
	s_or_b64 exec, exec, s[4:5]
	v_add_u32_e32 v24, 0xc00, v136
	s_waitcnt lgkmcnt(0)
	s_barrier
	ds_read2_b64 v[40:43], v24 offset0:16 offset1:141
	v_add_u32_e32 v24, 0x1400, v136
	ds_read2_b64 v[28:31], v24 offset0:10 offset1:160
	v_add_u32_e32 v24, 0x2400, v136
	v_add_u32_e32 v32, 0x1c00, v136
	ds_read2_b64 v[44:47], v24 offset0:48 offset1:173
	v_add_u32_e32 v24, 0x2c00, v136
	ds_read2_b64 v[36:39], v32 offset0:29 offset1:154
	v_add_u32_e32 v32, 0x3400, v136
	ds_read2_b64 v[24:27], v24 offset0:42 offset1:192
	ds_read2_b64 v[32:35], v32 offset0:61 offset1:186
	ds_read_b64 v[70:71], v136
	ds_read_b64 v[68:69], v137
	;; [unrolled: 1-line block ×3, first 2 shown]
	s_and_saveexec_b64 s[4:5], s[0:1]
	s_cbranch_execz .LBB0_31
; %bb.30:
	ds_read_b64 v[50:51], v100 offset:3000
	ds_read_b64 v[76:77], v136 offset:6200
	;; [unrolled: 1-line block ×5, first 2 shown]
.LBB0_31:
	s_or_b64 exec, exec, s[4:5]
	v_mov_b32_e32 v84, 41
	v_mul_lo_u16_sdwa v80, v133, v84 dst_sel:DWORD dst_unused:UNUSED_PAD src0_sel:BYTE_0 src1_sel:DWORD
	v_mul_lo_u16_sdwa v84, v134, v84 dst_sel:DWORD dst_unused:UNUSED_PAD src0_sel:BYTE_0 src1_sel:DWORD
	v_lshrrev_b16_e32 v103, 10, v80
	v_lshrrev_b16_e32 v191, 10, v84
	v_mul_lo_u16_e32 v80, 25, v103
	v_mul_lo_u16_e32 v84, 25, v191
	v_sub_u16_e32 v190, v133, v80
	v_mov_b32_e32 v85, 6
	v_sub_u16_e32 v192, v134, v84
	v_lshlrev_b32_sdwa v90, v85, v190 dst_sel:DWORD dst_unused:UNUSED_PAD src0_sel:DWORD src1_sel:BYTE_0
	v_lshlrev_b32_sdwa v84, v85, v192 dst_sel:DWORD dst_unused:UNUSED_PAD src0_sel:DWORD src1_sel:BYTE_0
	s_movk_i32 s4, 0x47af
	global_load_dwordx4 v[86:89], v90, s[8:9] offset:368
	global_load_dwordx4 v[80:83], v90, s[8:9] offset:352
	;; [unrolled: 1-line block ×8, first 2 shown]
	v_mul_u32_u24_sdwa v84, v135, s4 dst_sel:DWORD dst_unused:UNUSED_PAD src0_sel:WORD_0 src1_sel:DWORD
	v_sub_u16_sdwa v85, v135, v84 dst_sel:DWORD dst_unused:UNUSED_PAD src0_sel:DWORD src1_sel:WORD_1
	v_lshrrev_b16_e32 v85, 1, v85
	v_add_u16_sdwa v84, v85, v84 dst_sel:DWORD dst_unused:UNUSED_PAD src0_sel:DWORD src1_sel:WORD_1
	v_lshrrev_b16_e32 v193, 4, v84
	v_mul_lo_u16_e32 v84, 25, v193
	v_sub_u16_e32 v194, v135, v84
	v_lshlrev_b32_e32 v84, 6, v194
	global_load_dwordx4 v[126:129], v84, s[8:9] offset:368
	global_load_dwordx4 v[140:143], v84, s[8:9] offset:352
	global_load_dwordx4 v[144:147], v84, s[8:9] offset:336
	global_load_dwordx4 v[148:151], v84, s[8:9] offset:320
	v_mul_u32_u24_sdwa v84, v139, s4 dst_sel:DWORD dst_unused:UNUSED_PAD src0_sel:WORD_0 src1_sel:DWORD
	v_sub_u16_sdwa v85, v139, v84 dst_sel:DWORD dst_unused:UNUSED_PAD src0_sel:DWORD src1_sel:WORD_1
	v_lshrrev_b16_e32 v85, 1, v85
	v_add_u16_sdwa v84, v85, v84 dst_sel:DWORD dst_unused:UNUSED_PAD src0_sel:DWORD src1_sel:WORD_1
	v_lshrrev_b16_e32 v84, 4, v84
	v_mul_lo_u16_e32 v84, 25, v84
	v_sub_u16_e32 v139, v139, v84
	v_lshlrev_b32_e32 v84, 6, v139
	global_load_dwordx4 v[152:155], v84, s[8:9] offset:320
	global_load_dwordx4 v[156:159], v84, s[8:9] offset:336
	;; [unrolled: 1-line block ×4, first 2 shown]
	s_mov_b32 s6, 0x134454ff
	s_mov_b32 s7, 0x3fee6f0e
	;; [unrolled: 1-line block ×8, first 2 shown]
	s_waitcnt vmcnt(0) lgkmcnt(0)
	s_barrier
	v_mul_f64 v[130:131], v[26:27], v[88:89]
	v_mul_f64 v[101:102], v[44:45], v[82:83]
	;; [unrolled: 1-line block ×11, first 2 shown]
	v_fma_f64 v[90:91], v[16:17], v[106:107], -v[84:85]
	v_fma_f64 v[82:83], v[40:41], v[106:107], v[92:93]
	v_mul_f64 v[174:175], v[28:29], v[150:151]
	v_mul_f64 v[150:151], v[4:5], v[150:151]
	v_fma_f64 v[92:93], v[6:7], v[94:95], -v[98:99]
	v_fma_f64 v[84:85], v[30:31], v[94:95], v[96:97]
	v_fma_f64 v[94:95], v[20:21], v[80:81], -v[101:102]
	v_mul_f64 v[170:171], v[46:47], v[116:117]
	v_mul_f64 v[176:177], v[38:39], v[146:147]
	;; [unrolled: 1-line block ×7, first 2 shown]
	v_fma_f64 v[96:97], v[2:3], v[86:87], -v[130:131]
	v_fma_f64 v[2:3], v[28:29], v[148:149], v[150:151]
	v_add_f64 v[28:29], v[92:93], v[94:95]
	v_mul_f64 v[116:117], v[22:23], v[116:117]
	v_mul_f64 v[178:179], v[24:25], v[142:143]
	;; [unrolled: 1-line block ×4, first 2 shown]
	v_fma_f64 v[80:81], v[44:45], v[80:81], v[108:109]
	v_fma_f64 v[44:45], v[26:27], v[86:87], v[88:89]
	v_add_f64 v[26:27], v[62:63], v[90:91]
	v_mul_f64 v[120:121], v[12:13], v[120:121]
	v_mul_f64 v[172:173], v[32:33], v[112:113]
	;; [unrolled: 1-line block ×4, first 2 shown]
	v_fma_f64 v[20:21], v[42:43], v[122:123], v[124:125]
	v_fma_f64 v[42:43], v[12:13], v[118:119], -v[168:169]
	v_fma_f64 v[22:23], v[22:23], v[114:115], -v[170:171]
	v_fma_f64 v[6:7], v[38:39], v[144:145], v[146:147]
	v_fma_f64 v[38:39], v[66:67], v[152:153], -v[182:183]
	v_fma_f64 v[66:67], v[28:29], -0.5, v[62:63]
	v_fma_f64 v[28:29], v[76:77], v[152:153], v[154:155]
	v_fma_f64 v[30:31], v[78:79], v[156:157], v[158:159]
	v_add_f64 v[76:77], v[90:91], -v[92:93]
	v_add_f64 v[78:79], v[96:97], -v[94:95]
	v_mul_f64 v[180:181], v[34:35], v[128:129]
	v_mul_f64 v[128:129], v[10:11], v[128:129]
	;; [unrolled: 1-line block ×3, first 2 shown]
	v_fma_f64 v[12:13], v[46:47], v[114:115], v[116:117]
	v_fma_f64 v[16:17], v[4:5], v[148:149], -v[174:175]
	v_fma_f64 v[4:5], v[24:25], v[140:141], v[142:143]
	v_add_f64 v[24:25], v[82:83], -v[44:45]
	v_add_f64 v[26:27], v[26:27], v[92:93]
	v_fma_f64 v[46:47], v[56:57], v[164:165], -v[188:189]
	v_add_f64 v[56:57], v[90:91], v[96:97]
	v_mul_f64 v[162:163], v[58:59], v[162:163]
	v_fma_f64 v[86:87], v[18:19], v[122:123], -v[134:135]
	v_fma_f64 v[40:41], v[36:37], v[118:119], v[120:121]
	v_fma_f64 v[18:19], v[32:33], v[110:111], v[112:113]
	v_fma_f64 v[36:37], v[58:59], v[160:161], -v[186:187]
	v_add_f64 v[58:59], v[76:77], v[78:79]
	v_add_f64 v[76:77], v[42:43], v[22:23]
	v_fma_f64 v[88:89], v[8:9], v[110:111], -v[172:173]
	v_fma_f64 v[8:9], v[14:15], v[144:145], -v[176:177]
	;; [unrolled: 1-line block ×3, first 2 shown]
	v_fma_f64 v[0:1], v[34:35], v[126:127], v[128:129]
	v_fma_f64 v[34:35], v[64:65], v[156:157], -v[184:185]
	v_add_f64 v[64:65], v[84:85], -v[80:81]
	v_add_f64 v[98:99], v[26:27], v[94:95]
	v_fma_f64 v[101:102], v[24:25], s[6:7], v[66:67]
	v_fma_f64 v[56:57], v[56:57], -0.5, v[62:63]
	v_fma_f64 v[62:63], v[24:25], s[14:15], v[66:67]
	v_add_f64 v[66:67], v[54:55], v[86:87]
	v_fma_f64 v[76:77], v[76:77], -0.5, v[54:55]
	v_add_f64 v[78:79], v[20:21], -v[18:19]
	v_fma_f64 v[32:33], v[74:75], v[160:161], v[162:163]
	v_fma_f64 v[26:27], v[72:73], v[164:165], v[166:167]
	v_add_f64 v[72:73], v[98:99], v[96:97]
	v_fma_f64 v[74:75], v[64:65], s[4:5], v[101:102]
	v_fma_f64 v[98:99], v[64:65], s[14:15], v[56:57]
	v_add_f64 v[101:102], v[92:93], -v[90:91]
	v_add_f64 v[106:107], v[94:95], -v[96:97]
	v_fma_f64 v[56:57], v[64:65], s[6:7], v[56:57]
	v_fma_f64 v[62:63], v[64:65], s[16:17], v[62:63]
	v_add_f64 v[64:65], v[86:87], v[88:89]
	v_fma_f64 v[10:11], v[10:11], v[126:127], -v[180:181]
	v_add_f64 v[66:67], v[66:67], v[42:43]
	v_fma_f64 v[108:109], v[78:79], s[6:7], v[76:77]
	v_add_f64 v[110:111], v[40:41], -v[12:13]
	v_add_f64 v[112:113], v[86:87], -v[42:43]
	;; [unrolled: 1-line block ×3, first 2 shown]
	v_fma_f64 v[98:99], v[24:25], s[4:5], v[98:99]
	v_add_f64 v[101:102], v[101:102], v[106:107]
	v_fma_f64 v[24:25], v[24:25], s[16:17], v[56:57]
	v_fma_f64 v[54:55], v[64:65], -0.5, v[54:55]
	v_add_f64 v[64:65], v[8:9], v[14:15]
	v_add_f64 v[56:57], v[66:67], v[22:23]
	v_fma_f64 v[66:67], v[110:111], s[4:5], v[108:109]
	v_add_f64 v[108:109], v[16:17], v[10:11]
	v_add_f64 v[106:107], v[112:113], v[114:115]
	v_fma_f64 v[74:75], v[58:59], s[10:11], v[74:75]
	v_fma_f64 v[58:59], v[58:59], s[10:11], v[62:63]
	;; [unrolled: 1-line block ×5, first 2 shown]
	v_add_f64 v[101:102], v[42:43], -v[86:87]
	v_add_f64 v[112:113], v[22:23], -v[88:89]
	v_add_f64 v[114:115], v[52:53], v[16:17]
	v_fma_f64 v[64:65], v[64:65], -0.5, v[52:53]
	v_add_f64 v[116:117], v[2:3], -v[0:1]
	v_add_f64 v[118:119], v[6:7], -v[4:5]
	v_fma_f64 v[52:53], v[108:109], -0.5, v[52:53]
	v_fma_f64 v[98:99], v[110:111], s[14:15], v[54:55]
	v_fma_f64 v[76:77], v[110:111], s[16:17], v[76:77]
	v_add_f64 v[101:102], v[101:102], v[112:113]
	v_fma_f64 v[54:55], v[110:111], s[6:7], v[54:55]
	v_add_f64 v[108:109], v[114:115], v[8:9]
	v_fma_f64 v[110:111], v[116:117], s[6:7], v[64:65]
	v_add_f64 v[112:113], v[16:17], -v[8:9]
	v_add_f64 v[114:115], v[10:11], -v[14:15]
	v_fma_f64 v[64:65], v[116:117], s[14:15], v[64:65]
	v_fma_f64 v[120:121], v[118:119], s[14:15], v[52:53]
	v_add_f64 v[122:123], v[8:9], -v[16:17]
	v_add_f64 v[124:125], v[14:15], -v[10:11]
	v_fma_f64 v[52:53], v[118:119], s[6:7], v[52:53]
	v_fma_f64 v[98:99], v[78:79], s[4:5], v[98:99]
	;; [unrolled: 1-line block ×3, first 2 shown]
	v_add_f64 v[78:79], v[108:109], v[14:15]
	v_fma_f64 v[108:109], v[118:119], s[4:5], v[110:111]
	v_add_f64 v[110:111], v[112:113], v[114:115]
	v_fma_f64 v[64:65], v[118:119], s[16:17], v[64:65]
	v_fma_f64 v[112:113], v[116:117], s[4:5], v[120:121]
	v_add_f64 v[114:115], v[122:123], v[124:125]
	v_fma_f64 v[52:53], v[116:117], s[16:17], v[52:53]
	v_add_f64 v[56:57], v[56:57], v[88:89]
	v_fma_f64 v[66:67], v[106:107], s[10:11], v[66:67]
	v_fma_f64 v[76:77], v[106:107], s[10:11], v[76:77]
	v_add_f64 v[78:79], v[78:79], v[10:11]
	v_fma_f64 v[106:107], v[110:111], s[10:11], v[108:109]
	v_fma_f64 v[98:99], v[101:102], s[10:11], v[98:99]
	;; [unrolled: 1-line block ×6, first 2 shown]
	v_mov_b32_e32 v54, 3
	v_mul_u32_u24_e32 v52, 0x3e8, v103
	v_lshlrev_b32_sdwa v53, v54, v190 dst_sel:DWORD dst_unused:UNUSED_PAD src0_sel:DWORD src1_sel:BYTE_0
	v_add3_u32 v53, 0, v52, v53
	ds_write2_b64 v53, v[72:73], v[74:75] offset1:25
	ds_write2_b64 v53, v[62:63], v[24:25] offset0:50 offset1:75
	ds_write_b64 v53, v[58:59] offset:800
	v_mul_u32_u24_e32 v24, 0x3e8, v191
	v_lshlrev_b32_sdwa v25, v54, v192 dst_sel:DWORD dst_unused:UNUSED_PAD src0_sel:DWORD src1_sel:BYTE_0
	v_add3_u32 v54, 0, v24, v25
	v_mul_u32_u24_e32 v24, 0x3e8, v193
	v_lshlrev_b32_e32 v25, 3, v194
	v_add3_u32 v55, 0, v24, v25
	v_lshl_add_u32 v52, v139, 3, 0
	ds_write2_b64 v54, v[56:57], v[66:67] offset1:25
	ds_write2_b64 v54, v[98:99], v[101:102] offset0:50 offset1:75
	ds_write_b64 v54, v[76:77] offset:800
	ds_write2_b64 v55, v[78:79], v[106:107] offset1:25
	ds_write2_b64 v55, v[108:109], v[110:111] offset0:50 offset1:75
	ds_write_b64 v55, v[64:65] offset:800
	s_and_saveexec_b64 s[18:19], s[0:1]
	s_cbranch_execz .LBB0_33
; %bb.32:
	v_add_f64 v[24:25], v[38:39], v[46:47]
	v_add_f64 v[56:57], v[34:35], v[36:37]
	v_add_f64 v[62:63], v[28:29], -v[26:27]
	v_add_f64 v[64:65], v[48:49], v[38:39]
	v_add_f64 v[58:59], v[30:31], -v[32:33]
	v_add_f64 v[66:67], v[36:37], -v[46:47]
	;; [unrolled: 1-line block ×4, first 2 shown]
	v_fma_f64 v[24:25], v[24:25], -0.5, v[48:49]
	v_fma_f64 v[48:49], v[56:57], -0.5, v[48:49]
	v_add_f64 v[56:57], v[34:35], -v[38:39]
	v_add_f64 v[64:65], v[64:65], v[34:35]
	v_fma_f64 v[76:77], v[58:59], s[6:7], v[24:25]
	v_fma_f64 v[78:79], v[62:63], s[6:7], v[48:49]
	;; [unrolled: 1-line block ×4, first 2 shown]
	v_add_f64 v[56:57], v[56:57], v[66:67]
	v_add_f64 v[66:67], v[72:73], v[74:75]
	v_add_f64 v[64:65], v[64:65], v[36:37]
	v_fma_f64 v[72:73], v[62:63], s[16:17], v[76:77]
	v_fma_f64 v[74:75], v[58:59], s[4:5], v[78:79]
	;; [unrolled: 1-line block ×4, first 2 shown]
	v_add_f64 v[58:59], v[64:65], v[46:47]
	v_fma_f64 v[62:63], v[56:57], s[10:11], v[72:73]
	v_fma_f64 v[64:65], v[66:67], s[10:11], v[74:75]
	;; [unrolled: 1-line block ×4, first 2 shown]
	v_add_u32_e32 v56, 0x3800, v52
	ds_write2_b64 v56, v[58:59], v[64:65] offset0:83 offset1:108
	ds_write2_b64 v56, v[24:25], v[62:63] offset0:133 offset1:158
	ds_write_b64 v52, v[48:49] offset:15800
.LBB0_33:
	s_or_b64 exec, exec, s[18:19]
	v_add_f64 v[24:25], v[70:71], v[82:83]
	v_add_f64 v[48:49], v[84:85], v[80:81]
	v_add_f64 v[64:65], v[82:83], v[44:45]
	v_add_f64 v[56:57], v[90:91], -v[96:97]
	v_add_f64 v[58:59], v[92:93], -v[94:95]
	;; [unrolled: 1-line block ×4, first 2 shown]
	v_add_f64 v[72:73], v[40:41], v[12:13]
	v_add_f64 v[24:25], v[24:25], v[84:85]
	v_fma_f64 v[48:49], v[48:49], -0.5, v[70:71]
	v_add_f64 v[76:77], v[68:69], v[20:21]
	v_fma_f64 v[64:65], v[64:65], -0.5, v[70:71]
	v_add_f64 v[78:79], v[80:81], -v[44:45]
	v_add_f64 v[70:71], v[86:87], -v[88:89]
	v_add_f64 v[62:63], v[62:63], v[66:67]
	v_fma_f64 v[72:73], v[72:73], -0.5, v[68:69]
	v_add_f64 v[24:25], v[24:25], v[80:81]
	v_fma_f64 v[80:81], v[56:57], s[14:15], v[48:49]
	v_add_f64 v[66:67], v[76:77], v[40:41]
	v_fma_f64 v[48:49], v[56:57], s[6:7], v[48:49]
	v_fma_f64 v[76:77], v[58:59], s[6:7], v[64:65]
	;; [unrolled: 1-line block ×3, first 2 shown]
	v_add_f64 v[74:75], v[84:85], -v[82:83]
	v_add_f64 v[22:23], v[42:43], -v[22:23]
	v_add_f64 v[82:83], v[24:25], v[44:45]
	v_fma_f64 v[24:25], v[58:59], s[16:17], v[80:81]
	v_fma_f64 v[44:45], v[70:71], s[14:15], v[72:73]
	v_add_f64 v[42:43], v[20:21], -v[40:41]
	v_add_f64 v[80:81], v[18:19], -v[12:13]
	v_fma_f64 v[48:49], v[58:59], s[4:5], v[48:49]
	v_fma_f64 v[76:77], v[56:57], s[16:17], v[76:77]
	;; [unrolled: 1-line block ×3, first 2 shown]
	v_add_f64 v[64:65], v[66:67], v[12:13]
	v_add_f64 v[58:59], v[20:21], v[18:19]
	v_fma_f64 v[44:45], v[22:23], s[16:17], v[44:45]
	v_fma_f64 v[66:67], v[62:63], s[10:11], v[24:25]
	v_add_f64 v[42:43], v[42:43], v[80:81]
	v_fma_f64 v[48:49], v[62:63], s[10:11], v[48:49]
	v_add_f64 v[20:21], v[40:41], -v[20:21]
	v_add_f64 v[40:41], v[2:3], v[0:1]
	v_add_f64 v[62:63], v[64:65], v[18:19]
	;; [unrolled: 1-line block ×3, first 2 shown]
	v_fma_f64 v[24:25], v[58:59], -0.5, v[68:69]
	v_add_f64 v[12:13], v[12:13], -v[18:19]
	v_fma_f64 v[68:69], v[42:43], s[10:11], v[44:45]
	v_fma_f64 v[44:45], v[70:71], s[6:7], v[72:73]
	v_add_f64 v[18:19], v[60:61], v[2:3]
	v_add_f64 v[10:11], v[16:17], -v[10:11]
	v_add_f64 v[8:9], v[8:9], -v[14:15]
	v_fma_f64 v[64:65], v[64:65], -0.5, v[60:61]
	v_fma_f64 v[14:15], v[40:41], -0.5, v[60:61]
	v_fma_f64 v[72:73], v[22:23], s[6:7], v[24:25]
	v_add_f64 v[12:13], v[20:21], v[12:13]
	v_fma_f64 v[16:17], v[22:23], s[4:5], v[44:45]
	v_fma_f64 v[20:21], v[22:23], s[14:15], v[24:25]
	v_add_f64 v[18:19], v[18:19], v[6:7]
	v_add_f64 v[24:25], v[2:3], -v[6:7]
	v_fma_f64 v[22:23], v[10:11], s[14:15], v[64:65]
	v_add_f64 v[40:41], v[0:1], -v[4:5]
	v_fma_f64 v[60:61], v[10:11], s[6:7], v[64:65]
	v_fma_f64 v[64:65], v[8:9], s[6:7], v[14:15]
	v_add_f64 v[2:3], v[6:7], -v[2:3]
	v_add_f64 v[6:7], v[4:5], -v[0:1]
	v_fma_f64 v[14:15], v[8:9], s[14:15], v[14:15]
	v_add_f64 v[74:75], v[74:75], v[78:79]
	v_fma_f64 v[44:45], v[70:71], s[16:17], v[72:73]
	v_fma_f64 v[20:21], v[70:71], s[4:5], v[20:21]
	v_add_f64 v[4:5], v[18:19], v[4:5]
	v_fma_f64 v[18:19], v[8:9], s[16:17], v[22:23]
	v_add_f64 v[22:23], v[24:25], v[40:41]
	;; [unrolled: 2-line block ×3, first 2 shown]
	v_fma_f64 v[8:9], v[8:9], s[4:5], v[60:61]
	v_fma_f64 v[6:7], v[10:11], s[4:5], v[14:15]
	;; [unrolled: 1-line block ×7, first 2 shown]
	v_add_f64 v[72:73], v[4:5], v[0:1]
	v_fma_f64 v[78:79], v[2:3], s[10:11], v[24:25]
	s_waitcnt lgkmcnt(0)
	s_barrier
	ds_read_b64 v[24:25], v136
	ds_read_b64 v[42:43], v137
	;; [unrolled: 1-line block ×3, first 2 shown]
	ds_read_b64 v[40:41], v100 offset:3000
	v_add_u32_e32 v4, 0x1400, v136
	v_add_u32_e32 v12, 0x2400, v136
	v_fma_f64 v[74:75], v[22:23], s[10:11], v[18:19]
	v_fma_f64 v[76:77], v[22:23], s[10:11], v[8:9]
	v_add_u32_e32 v0, 0xc00, v136
	ds_read2_b64 v[8:11], v4 offset0:110 offset1:235
	v_add_u32_e32 v4, 0x1c00, v136
	ds_read2_b64 v[20:23], v12 offset0:98 offset1:223
	v_add_u32_e32 v12, 0x2c00, v136
	v_add_u32_e32 v16, 0x3400, v136
	v_fma_f64 v[80:81], v[2:3], s[10:11], v[6:7]
	ds_read2_b64 v[0:3], v0 offset0:116 offset1:241
	ds_read2_b64 v[4:7], v4 offset0:104 offset1:229
	ds_read2_b64 v[12:15], v12 offset0:92 offset1:217
	ds_read2_b64 v[16:19], v16 offset0:86 offset1:211
	s_waitcnt lgkmcnt(0)
	s_barrier
	ds_write2_b64 v53, v[82:83], v[66:67] offset1:25
	ds_write2_b64 v53, v[58:59], v[56:57] offset0:50 offset1:75
	ds_write_b64 v53, v[48:49] offset:800
	ds_write2_b64 v54, v[62:63], v[68:69] offset1:25
	ds_write2_b64 v54, v[64:65], v[70:71] offset0:50 offset1:75
	ds_write_b64 v54, v[60:61] offset:800
	;; [unrolled: 3-line block ×3, first 2 shown]
	s_and_saveexec_b64 s[4:5], s[0:1]
	s_cbranch_execz .LBB0_35
; %bb.34:
	v_add_f64 v[48:49], v[30:31], v[32:33]
	v_add_f64 v[38:39], v[38:39], -v[46:47]
	v_add_f64 v[46:47], v[28:29], v[26:27]
	v_add_f64 v[53:54], v[50:51], v[28:29]
	v_add_f64 v[34:35], v[34:35], -v[36:37]
	s_mov_b32 s0, 0x134454ff
	s_mov_b32 s1, 0xbfee6f0e
	s_mov_b32 s11, 0x3fee6f0e
	v_fma_f64 v[36:37], v[48:49], -0.5, v[50:51]
	v_add_f64 v[48:49], v[28:29], -v[30:31]
	v_fma_f64 v[46:47], v[46:47], -0.5, v[50:51]
	v_add_f64 v[50:51], v[26:27], -v[32:33]
	v_add_f64 v[28:29], v[30:31], -v[28:29]
	v_add_f64 v[30:31], v[53:54], v[30:31]
	s_mov_b32 s10, s0
	v_add_f64 v[55:56], v[32:33], -v[26:27]
	v_fma_f64 v[53:54], v[38:39], s[0:1], v[36:37]
	v_fma_f64 v[36:37], v[38:39], s[10:11], v[36:37]
	;; [unrolled: 1-line block ×4, first 2 shown]
	s_mov_b32 s6, 0x4755a5e
	s_mov_b32 s7, 0xbfe2cf23
	v_add_f64 v[48:49], v[48:49], v[50:51]
	v_add_f64 v[30:31], v[30:31], v[32:33]
	v_fma_f64 v[32:33], v[34:35], s[6:7], v[53:54]
	s_mov_b32 s1, 0x3fe2cf23
	s_mov_b32 s0, s6
	v_fma_f64 v[50:51], v[38:39], s[6:7], v[57:58]
	v_add_f64 v[28:29], v[28:29], v[55:56]
	v_fma_f64 v[38:39], v[38:39], s[0:1], v[46:47]
	v_fma_f64 v[34:35], v[34:35], s[0:1], v[36:37]
	s_mov_b32 s0, 0x372fe950
	s_mov_b32 s1, 0x3fd3c6ef
	v_add_f64 v[26:27], v[30:31], v[26:27]
	v_fma_f64 v[30:31], v[48:49], s[0:1], v[32:33]
	v_add_u32_e32 v36, 0x3800, v52
	v_fma_f64 v[32:33], v[28:29], s[0:1], v[50:51]
	v_fma_f64 v[28:29], v[28:29], s[0:1], v[38:39]
	;; [unrolled: 1-line block ×3, first 2 shown]
	ds_write2_b64 v36, v[26:27], v[30:31] offset0:83 offset1:108
	ds_write2_b64 v36, v[32:33], v[28:29] offset0:133 offset1:158
	ds_write_b64 v52, v[34:35] offset:15800
.LBB0_35:
	s_or_b64 exec, exec, s[4:5]
	s_waitcnt lgkmcnt(0)
	s_barrier
	s_and_saveexec_b64 s[0:1], vcc
	s_cbranch_execz .LBB0_37
; %bb.36:
	v_mul_u32_u24_e32 v26, 15, v133
	v_lshlrev_b32_e32 v38, 4, v26
	global_load_dwordx4 v[26:29], v38, s[8:9] offset:1936
	global_load_dwordx4 v[30:33], v38, s[8:9] offset:2064
	;; [unrolled: 1-line block ×15, first 2 shown]
	v_add_u32_e32 v94, 0x2400, v136
	v_add_u32_e32 v98, 0x1400, v136
	;; [unrolled: 1-line block ×6, first 2 shown]
	ds_read_b64 v[38:39], v136
	ds_read_b64 v[102:103], v138
	;; [unrolled: 1-line block ×3, first 2 shown]
	ds_read_b64 v[124:125], v100 offset:3000
	ds_read2_b64 v[94:97], v94 offset0:98 offset1:223
	ds_read2_b64 v[98:101], v98 offset0:110 offset1:235
	;; [unrolled: 1-line block ×6, first 2 shown]
	s_mov_b32 s6, 0x667f3bcd
	s_mov_b32 s7, 0x3fe6a09e
	;; [unrolled: 1-line block ×12, first 2 shown]
	s_waitcnt vmcnt(14) lgkmcnt(8)
	v_mul_f64 v[126:127], v[102:103], v[28:29]
	s_waitcnt vmcnt(13) lgkmcnt(5)
	v_mul_f64 v[128:129], v[94:95], v[32:33]
	s_waitcnt vmcnt(12)
	v_mul_f64 v[130:131], v[8:9], v[36:37]
	s_waitcnt vmcnt(11)
	;; [unrolled: 2-line block ×3, first 2 shown]
	v_mul_f64 v[135:136], v[4:5], v[52:53]
	s_waitcnt vmcnt(9) lgkmcnt(1)
	v_mul_f64 v[137:138], v[114:115], v[56:57]
	s_waitcnt vmcnt(8) lgkmcnt(0)
	v_mul_f64 v[139:140], v[118:119], v[60:61]
	v_mul_f64 v[28:29], v[44:45], v[28:29]
	;; [unrolled: 1-line block ×5, first 2 shown]
	s_waitcnt vmcnt(7)
	v_mul_f64 v[141:142], v[122:123], v[64:65]
	s_waitcnt vmcnt(6)
	v_mul_f64 v[143:144], v[112:113], v[68:69]
	;; [unrolled: 2-line block ×8, first 2 shown]
	v_mul_f64 v[80:81], v[40:41], v[80:81]
	v_mul_f64 v[84:85], v[22:23], v[84:85]
	;; [unrolled: 1-line block ×11, first 2 shown]
	v_fma_f64 v[44:45], v[44:45], v[26:27], -v[126:127]
	v_fma_f64 v[20:21], v[20:21], v[30:31], -v[128:129]
	v_fma_f64 v[106:107], v[106:107], v[46:47], v[133:134]
	v_fma_f64 v[110:111], v[110:111], v[50:51], v[135:136]
	v_fma_f64 v[0:1], v[0:1], v[54:55], -v[137:138]
	v_fma_f64 v[12:13], v[12:13], v[58:59], -v[139:140]
	v_fma_f64 v[26:27], v[26:27], v[102:103], v[28:29]
	v_fma_f64 v[28:29], v[30:31], v[94:95], v[32:33]
	v_fma_f64 v[8:9], v[8:9], v[34:35], -v[36:37]
	v_fma_f64 v[16:17], v[16:17], v[46:47], -v[48:49]
	v_fma_f64 v[30:31], v[42:43], v[62:63], -v[141:142]
	v_fma_f64 v[46:47], v[78:79], v[124:125], v[80:81]
	v_fma_f64 v[48:49], v[82:83], v[96:97], v[84:85]
	v_fma_f64 v[10:11], v[10:11], v[86:87], -v[88:89]
	v_fma_f64 v[18:19], v[18:19], v[90:91], -v[92:93]
	v_fma_f64 v[62:63], v[62:63], v[122:123], v[64:65]
	v_fma_f64 v[64:65], v[66:67], v[112:113], v[68:69]
	v_fma_f64 v[2:3], v[2:3], v[70:71], -v[72:73]
	v_fma_f64 v[14:15], v[14:15], v[74:75], -v[76:77]
	v_fma_f64 v[98:99], v[98:99], v[34:35], v[130:131]
	v_fma_f64 v[6:7], v[6:7], v[66:67], -v[143:144]
	v_fma_f64 v[32:33], v[116:117], v[70:71], v[145:146]
	v_fma_f64 v[34:35], v[120:121], v[74:75], v[147:148]
	v_fma_f64 v[36:37], v[40:41], v[78:79], -v[149:150]
	v_fma_f64 v[22:23], v[22:23], v[82:83], -v[151:152]
	v_fma_f64 v[40:41], v[100:101], v[86:87], v[153:154]
	v_fma_f64 v[42:43], v[108:109], v[90:91], v[155:156]
	v_fma_f64 v[4:5], v[4:5], v[50:51], -v[52:53]
	v_fma_f64 v[50:51], v[54:55], v[114:115], v[56:57]
	v_fma_f64 v[52:53], v[58:59], v[118:119], v[60:61]
	v_add_f64 v[56:57], v[38:39], -v[110:111]
	v_add_f64 v[12:13], v[0:1], -v[12:13]
	;; [unrolled: 1-line block ×11, first 2 shown]
	v_add_f64 v[64:65], v[56:57], v[12:13]
	v_add_f64 v[66:67], v[28:29], v[16:17]
	v_add_f64 v[34:35], v[32:33], -v[34:35]
	v_add_f64 v[22:23], v[36:37], -v[22:23]
	;; [unrolled: 1-line block ×3, first 2 shown]
	v_add_f64 v[68:69], v[48:49], v[18:19]
	v_add_f64 v[70:71], v[58:59], v[14:15]
	v_add_f64 v[4:5], v[24:25], -v[4:5]
	v_add_f64 v[52:53], v[50:51], -v[52:53]
	;; [unrolled: 1-line block ×4, first 2 shown]
	v_fma_f64 v[76:77], v[66:67], s[6:7], v[64:65]
	v_add_f64 v[74:75], v[22:23], -v[42:43]
	v_fma_f64 v[38:39], v[38:39], 2.0, -v[56:57]
	v_fma_f64 v[78:79], v[68:69], s[6:7], v[70:71]
	v_fma_f64 v[44:45], v[44:45], 2.0, -v[20:21]
	v_add_f64 v[80:81], v[4:5], -v[52:53]
	v_fma_f64 v[50:51], v[50:51], 2.0, -v[52:53]
	v_fma_f64 v[8:9], v[8:9], 2.0, -v[16:17]
	;; [unrolled: 1-line block ×14, first 2 shown]
	v_fma_f64 v[82:83], v[74:75], s[6:7], v[72:73]
	v_fma_f64 v[76:77], v[60:61], s[6:7], v[76:77]
	;; [unrolled: 1-line block ×4, first 2 shown]
	v_add_f64 v[36:37], v[38:39], -v[50:51]
	v_add_f64 v[42:43], v[44:45], -v[8:9]
	;; [unrolled: 1-line block ×8, first 2 shown]
	v_fma_f64 v[56:57], v[56:57], 2.0, -v[64:65]
	v_fma_f64 v[8:9], v[28:29], 2.0, -v[66:67]
	;; [unrolled: 1-line block ×4, first 2 shown]
	v_fma_f64 v[82:83], v[68:69], s[0:1], v[82:83]
	v_fma_f64 v[86:87], v[78:79], s[8:9], v[76:77]
	;; [unrolled: 1-line block ×3, first 2 shown]
	v_add_f64 v[28:29], v[42:43], v[36:37]
	v_add_f64 v[58:59], v[46:47], -v[50:51]
	v_add_f64 v[66:67], v[32:33], v[52:53]
	v_add_f64 v[68:69], v[54:55], -v[62:63]
	v_fma_f64 v[0:1], v[20:21], 2.0, -v[60:61]
	v_fma_f64 v[12:13], v[8:9], s[0:1], v[56:57]
	v_fma_f64 v[60:61], v[6:7], 2.0, -v[72:73]
	v_fma_f64 v[6:7], v[22:23], 2.0, -v[74:75]
	v_fma_f64 v[14:15], v[10:11], s[0:1], v[48:49]
	v_fma_f64 v[74:75], v[4:5], 2.0, -v[80:81]
	v_fma_f64 v[2:3], v[82:83], s[4:5], v[86:87]
	v_fma_f64 v[4:5], v[82:83], s[8:9], v[84:85]
	;; [unrolled: 1-line block ×8, first 2 shown]
	v_fma_f64 v[22:23], v[26:27], 2.0, -v[62:63]
	v_fma_f64 v[26:27], v[34:35], 2.0, -v[52:53]
	;; [unrolled: 1-line block ×6, first 2 shown]
	v_fma_f64 v[0:1], v[78:79], s[10:11], v[4:5]
	v_fma_f64 v[6:7], v[58:59], s[6:7], v[18:19]
	;; [unrolled: 1-line block ×4, first 2 shown]
	v_fma_f64 v[10:11], v[76:77], 2.0, -v[2:3]
	v_fma_f64 v[94:95], v[38:39], 2.0, -v[36:37]
	;; [unrolled: 1-line block ×7, first 2 shown]
	v_fma_f64 v[92:93], v[8:9], s[0:1], v[14:15]
	v_fma_f64 v[62:63], v[16:17], 2.0, -v[46:47]
	v_fma_f64 v[42:43], v[70:71], 2.0, -v[78:79]
	v_add_f64 v[64:65], v[52:53], -v[24:25]
	v_add_f64 v[70:71], v[40:41], -v[30:31]
	v_fma_f64 v[14:15], v[28:29], 2.0, -v[6:7]
	v_fma_f64 v[28:29], v[34:35], s[10:11], v[72:73]
	v_fma_f64 v[36:37], v[46:47], 2.0, -v[58:59]
	v_fma_f64 v[46:47], v[66:67], s[0:1], v[76:77]
	v_fma_f64 v[58:59], v[54:55], 2.0, -v[68:69]
	v_fma_f64 v[56:57], v[56:57], 2.0, -v[86:87]
	;; [unrolled: 1-line block ×3, first 2 shown]
	v_add_f64 v[44:45], v[94:95], -v[22:23]
	v_add_f64 v[50:51], v[62:63], -v[26:27]
	;; [unrolled: 1-line block ×3, first 2 shown]
	v_fma_f64 v[54:55], v[60:61], 2.0, -v[90:91]
	v_fma_f64 v[60:61], v[74:75], 2.0, -v[92:93]
	;; [unrolled: 1-line block ×3, first 2 shown]
	v_fma_f64 v[30:31], v[42:43], s[10:11], v[38:39]
	v_fma_f64 v[28:29], v[42:43], s[14:15], v[28:29]
	;; [unrolled: 1-line block ×5, first 2 shown]
	v_add_f64 v[26:27], v[44:45], v[50:51]
	v_fma_f64 v[32:33], v[64:65], 2.0, -v[24:25]
	v_fma_f64 v[74:75], v[54:55], s[14:15], v[60:61]
	v_fma_f64 v[78:79], v[94:95], 2.0, -v[44:45]
	v_fma_f64 v[70:71], v[40:41], 2.0, -v[70:71]
	;; [unrolled: 1-line block ×4, first 2 shown]
	v_fma_f64 v[40:41], v[66:67], s[0:1], v[46:47]
	v_fma_f64 v[46:47], v[54:55], s[4:5], v[68:69]
	;; [unrolled: 1-line block ×3, first 2 shown]
	v_fma_f64 v[34:35], v[44:45], 2.0, -v[26:27]
	v_fma_f64 v[44:45], v[48:49], s[10:11], v[74:75]
	v_add_f64 v[54:55], v[78:79], -v[70:71]
	v_mad_u64_u32 v[66:67], s[0:1], s2, v132, 0
	v_add_f64 v[52:53], v[64:65], -v[52:53]
	v_fma_f64 v[48:49], v[58:59], 2.0, -v[40:41]
	v_fma_f64 v[58:59], v[56:57], 2.0, -v[46:47]
	v_mov_b32_e32 v56, v67
	v_mad_u64_u32 v[67:68], s[0:1], s3, v132, v[56:57]
	v_add_u32_e32 v69, 0x7d, v132
	v_fma_f64 v[56:57], v[60:61], 2.0, -v[44:45]
	v_fma_f64 v[62:63], v[78:79], 2.0, -v[54:55]
	;; [unrolled: 1-line block ×3, first 2 shown]
	v_mad_u64_u32 v[64:65], s[0:1], s2, v69, 0
	v_lshlrev_b64 v[66:67], 4, v[66:67]
	v_mov_b32_e32 v68, s13
	v_add_co_u32_e32 v70, vcc, s12, v104
	v_addc_co_u32_e32 v71, vcc, v68, v105, vcc
	v_mad_u64_u32 v[68:69], s[0:1], s3, v69, v[65:66]
	v_add_co_u32_e32 v65, vcc, v70, v66
	v_addc_co_u32_e32 v66, vcc, v71, v67, vcc
	global_store_dwordx4 v[65:66], v[60:63], off
	v_mov_b32_e32 v65, v68
	v_lshlrev_b64 v[60:61], 4, v[64:65]
	v_add_u32_e32 v64, 0xfa, v132
	v_mad_u64_u32 v[62:63], s[0:1], s2, v64, 0
	v_fma_f64 v[50:51], v[76:77], 2.0, -v[42:43]
	v_add_co_u32_e32 v60, vcc, v70, v60
	v_mad_u64_u32 v[63:64], s[0:1], s3, v64, v[63:64]
	v_addc_co_u32_e32 v61, vcc, v71, v61, vcc
	v_add_u32_e32 v66, 0x177, v132
	v_mad_u64_u32 v[64:65], s[0:1], s2, v66, 0
	global_store_dwordx4 v[60:61], v[56:59], off
	v_fma_f64 v[18:19], v[88:89], s[4:5], v[86:87]
	v_lshlrev_b64 v[56:57], 4, v[62:63]
	v_fma_f64 v[20:21], v[90:91], s[4:5], v[92:93]
	v_add_co_u32_e32 v56, vcc, v70, v56
	v_addc_co_u32_e32 v57, vcc, v71, v57, vcc
	v_mov_b32_e32 v58, v65
	global_store_dwordx4 v[56:57], v[48:51], off
	v_add_u32_e32 v56, 0x1f4, v132
	v_mad_u64_u32 v[58:59], s[0:1], s3, v66, v[58:59]
	v_mad_u64_u32 v[50:51], s[0:1], s2, v56, 0
	v_fma_f64 v[38:39], v[38:39], 2.0, -v[30:31]
	v_fma_f64 v[36:37], v[72:73], 2.0, -v[28:29]
	v_mov_b32_e32 v65, v58
	v_mad_u64_u32 v[56:57], s[0:1], s3, v56, v[51:52]
	v_lshlrev_b64 v[48:49], 4, v[64:65]
	v_fma_f64 v[18:19], v[90:91], s[8:9], v[18:19]
	v_fma_f64 v[16:17], v[88:89], s[14:15], v[20:21]
	v_add_co_u32_e32 v48, vcc, v70, v48
	v_add_u32_e32 v59, 0x271, v132
	v_addc_co_u32_e32 v49, vcc, v71, v49, vcc
	v_mad_u64_u32 v[57:58], s[0:1], s2, v59, 0
	v_mov_b32_e32 v51, v56
	global_store_dwordx4 v[48:49], v[36:39], off
	v_fma_f64 v[22:23], v[86:87], 2.0, -v[18:19]
	v_lshlrev_b64 v[36:37], 4, v[50:51]
	v_mov_b32_e32 v38, v58
	v_add_co_u32_e32 v36, vcc, v70, v36
	v_addc_co_u32_e32 v37, vcc, v71, v37, vcc
	v_mad_u64_u32 v[38:39], s[0:1], s3, v59, v[38:39]
	global_store_dwordx4 v[36:37], v[32:35], off
	v_add_u32_e32 v36, 0x2ee, v132
	v_fma_f64 v[20:21], v[92:93], 2.0, -v[16:17]
	v_mad_u64_u32 v[34:35], s[0:1], s2, v36, 0
	v_mov_b32_e32 v58, v38
	v_lshlrev_b64 v[32:33], 4, v[57:58]
	v_mad_u64_u32 v[35:36], s[0:1], s3, v36, v[35:36]
	v_add_co_u32_e32 v32, vcc, v70, v32
	v_addc_co_u32_e32 v33, vcc, v71, v33, vcc
	v_add_u32_e32 v38, 0x36b, v132
	v_mad_u64_u32 v[36:37], s[0:1], s2, v38, 0
	global_store_dwordx4 v[32:33], v[20:23], off
	v_fma_f64 v[8:9], v[84:85], 2.0, -v[0:1]
	v_lshlrev_b64 v[20:21], 4, v[34:35]
	v_mov_b32_e32 v22, v37
	v_add_co_u32_e32 v20, vcc, v70, v20
	v_addc_co_u32_e32 v21, vcc, v71, v21, vcc
	global_store_dwordx4 v[20:21], v[12:15], off
	v_add_u32_e32 v20, 0x3e8, v132
	v_mad_u64_u32 v[22:23], s[0:1], s3, v38, v[22:23]
	v_mad_u64_u32 v[14:15], s[0:1], s2, v20, 0
	v_mov_b32_e32 v37, v22
	v_add_u32_e32 v23, 0x465, v132
	v_mad_u64_u32 v[20:21], s[0:1], s3, v20, v[15:16]
	v_lshlrev_b64 v[12:13], 4, v[36:37]
	v_mad_u64_u32 v[21:22], s[0:1], s2, v23, 0
	v_add_co_u32_e32 v12, vcc, v70, v12
	v_addc_co_u32_e32 v13, vcc, v71, v13, vcc
	global_store_dwordx4 v[12:13], v[8:11], off
	v_add_u32_e32 v12, 0x4e2, v132
	v_mov_b32_e32 v10, v22
	v_mad_u64_u32 v[10:11], s[0:1], s3, v23, v[10:11]
	v_mov_b32_e32 v15, v20
	v_lshlrev_b64 v[8:9], 4, v[14:15]
	v_mov_b32_e32 v22, v10
	v_mad_u64_u32 v[10:11], s[0:1], s2, v12, 0
	v_add_co_u32_e32 v8, vcc, v70, v8
	v_addc_co_u32_e32 v9, vcc, v71, v9, vcc
	v_mad_u64_u32 v[11:12], s[0:1], s3, v12, v[11:12]
	v_add_u32_e32 v14, 0x55f, v132
	global_store_dwordx4 v[8:9], v[52:55], off
	v_lshlrev_b64 v[8:9], 4, v[21:22]
	v_mad_u64_u32 v[12:13], s[0:1], s2, v14, 0
	v_add_co_u32_e32 v8, vcc, v70, v8
	v_addc_co_u32_e32 v9, vcc, v71, v9, vcc
	global_store_dwordx4 v[8:9], v[44:47], off
	v_lshlrev_b64 v[8:9], 4, v[10:11]
	v_mov_b32_e32 v10, v13
	v_mad_u64_u32 v[10:11], s[0:1], s3, v14, v[10:11]
	v_add_co_u32_e32 v8, vcc, v70, v8
	v_addc_co_u32_e32 v9, vcc, v71, v9, vcc
	v_mov_b32_e32 v13, v10
	global_store_dwordx4 v[8:9], v[40:43], off
	v_lshlrev_b64 v[8:9], 4, v[12:13]
	v_add_u32_e32 v12, 0x5dc, v132
	v_mad_u64_u32 v[10:11], s[0:1], s2, v12, 0
	v_add_u32_e32 v14, 0x659, v132
	v_add_co_u32_e32 v8, vcc, v70, v8
	v_mad_u64_u32 v[11:12], s[0:1], s3, v12, v[11:12]
	v_mad_u64_u32 v[12:13], s[0:1], s2, v14, 0
	v_addc_co_u32_e32 v9, vcc, v71, v9, vcc
	global_store_dwordx4 v[8:9], v[28:31], off
	v_lshlrev_b64 v[8:9], 4, v[10:11]
	v_mov_b32_e32 v10, v13
	v_mad_u64_u32 v[10:11], s[0:1], s3, v14, v[10:11]
	v_add_co_u32_e32 v8, vcc, v70, v8
	v_addc_co_u32_e32 v9, vcc, v71, v9, vcc
	v_mov_b32_e32 v13, v10
	global_store_dwordx4 v[8:9], v[24:27], off
	v_lshlrev_b64 v[8:9], 4, v[12:13]
	v_add_u32_e32 v12, 0x6d6, v132
	v_mad_u64_u32 v[10:11], s[0:1], s2, v12, 0
	v_add_u32_e32 v14, 0x753, v132
	v_add_co_u32_e32 v8, vcc, v70, v8
	v_mad_u64_u32 v[11:12], s[0:1], s3, v12, v[11:12]
	v_mad_u64_u32 v[12:13], s[0:1], s2, v14, 0
	v_addc_co_u32_e32 v9, vcc, v71, v9, vcc
	global_store_dwordx4 v[8:9], v[16:19], off
	v_lshlrev_b64 v[8:9], 4, v[10:11]
	v_mov_b32_e32 v10, v13
	v_mad_u64_u32 v[10:11], s[0:1], s3, v14, v[10:11]
	v_add_co_u32_e32 v8, vcc, v70, v8
	v_addc_co_u32_e32 v9, vcc, v71, v9, vcc
	v_mov_b32_e32 v13, v10
	global_store_dwordx4 v[8:9], v[4:7], off
	s_nop 0
	v_lshlrev_b64 v[4:5], 4, v[12:13]
	v_add_co_u32_e32 v4, vcc, v70, v4
	v_addc_co_u32_e32 v5, vcc, v71, v5, vcc
	global_store_dwordx4 v[4:5], v[0:3], off
.LBB0_37:
	s_endpgm
	.section	.rodata,"a",@progbits
	.p2align	6, 0x0
	.amdhsa_kernel fft_rtc_fwd_len2000_factors_5_5_5_16_wgs_125_tpt_125_halfLds_dp_ip_CI_sbrr_dirReg
		.amdhsa_group_segment_fixed_size 0
		.amdhsa_private_segment_fixed_size 0
		.amdhsa_kernarg_size 88
		.amdhsa_user_sgpr_count 6
		.amdhsa_user_sgpr_private_segment_buffer 1
		.amdhsa_user_sgpr_dispatch_ptr 0
		.amdhsa_user_sgpr_queue_ptr 0
		.amdhsa_user_sgpr_kernarg_segment_ptr 1
		.amdhsa_user_sgpr_dispatch_id 0
		.amdhsa_user_sgpr_flat_scratch_init 0
		.amdhsa_user_sgpr_private_segment_size 0
		.amdhsa_uses_dynamic_stack 0
		.amdhsa_system_sgpr_private_segment_wavefront_offset 0
		.amdhsa_system_sgpr_workgroup_id_x 1
		.amdhsa_system_sgpr_workgroup_id_y 0
		.amdhsa_system_sgpr_workgroup_id_z 0
		.amdhsa_system_sgpr_workgroup_info 0
		.amdhsa_system_vgpr_workitem_id 0
		.amdhsa_next_free_vgpr 210
		.amdhsa_next_free_sgpr 24
		.amdhsa_reserve_vcc 1
		.amdhsa_reserve_flat_scratch 0
		.amdhsa_float_round_mode_32 0
		.amdhsa_float_round_mode_16_64 0
		.amdhsa_float_denorm_mode_32 3
		.amdhsa_float_denorm_mode_16_64 3
		.amdhsa_dx10_clamp 1
		.amdhsa_ieee_mode 1
		.amdhsa_fp16_overflow 0
		.amdhsa_exception_fp_ieee_invalid_op 0
		.amdhsa_exception_fp_denorm_src 0
		.amdhsa_exception_fp_ieee_div_zero 0
		.amdhsa_exception_fp_ieee_overflow 0
		.amdhsa_exception_fp_ieee_underflow 0
		.amdhsa_exception_fp_ieee_inexact 0
		.amdhsa_exception_int_div_zero 0
	.end_amdhsa_kernel
	.text
.Lfunc_end0:
	.size	fft_rtc_fwd_len2000_factors_5_5_5_16_wgs_125_tpt_125_halfLds_dp_ip_CI_sbrr_dirReg, .Lfunc_end0-fft_rtc_fwd_len2000_factors_5_5_5_16_wgs_125_tpt_125_halfLds_dp_ip_CI_sbrr_dirReg
                                        ; -- End function
	.section	.AMDGPU.csdata,"",@progbits
; Kernel info:
; codeLenInByte = 14608
; NumSgprs: 28
; NumVgprs: 210
; ScratchSize: 0
; MemoryBound: 1
; FloatMode: 240
; IeeeMode: 1
; LDSByteSize: 0 bytes/workgroup (compile time only)
; SGPRBlocks: 3
; VGPRBlocks: 52
; NumSGPRsForWavesPerEU: 28
; NumVGPRsForWavesPerEU: 210
; Occupancy: 1
; WaveLimiterHint : 1
; COMPUTE_PGM_RSRC2:SCRATCH_EN: 0
; COMPUTE_PGM_RSRC2:USER_SGPR: 6
; COMPUTE_PGM_RSRC2:TRAP_HANDLER: 0
; COMPUTE_PGM_RSRC2:TGID_X_EN: 1
; COMPUTE_PGM_RSRC2:TGID_Y_EN: 0
; COMPUTE_PGM_RSRC2:TGID_Z_EN: 0
; COMPUTE_PGM_RSRC2:TIDIG_COMP_CNT: 0
	.type	__hip_cuid_504c4349986cd07c,@object ; @__hip_cuid_504c4349986cd07c
	.section	.bss,"aw",@nobits
	.globl	__hip_cuid_504c4349986cd07c
__hip_cuid_504c4349986cd07c:
	.byte	0                               ; 0x0
	.size	__hip_cuid_504c4349986cd07c, 1

	.ident	"AMD clang version 19.0.0git (https://github.com/RadeonOpenCompute/llvm-project roc-6.4.0 25133 c7fe45cf4b819c5991fe208aaa96edf142730f1d)"
	.section	".note.GNU-stack","",@progbits
	.addrsig
	.addrsig_sym __hip_cuid_504c4349986cd07c
	.amdgpu_metadata
---
amdhsa.kernels:
  - .args:
      - .actual_access:  read_only
        .address_space:  global
        .offset:         0
        .size:           8
        .value_kind:     global_buffer
      - .offset:         8
        .size:           8
        .value_kind:     by_value
      - .actual_access:  read_only
        .address_space:  global
        .offset:         16
        .size:           8
        .value_kind:     global_buffer
      - .actual_access:  read_only
        .address_space:  global
        .offset:         24
        .size:           8
        .value_kind:     global_buffer
      - .offset:         32
        .size:           8
        .value_kind:     by_value
      - .actual_access:  read_only
        .address_space:  global
        .offset:         40
        .size:           8
        .value_kind:     global_buffer
      - .actual_access:  read_only
        .address_space:  global
        .offset:         48
        .size:           8
        .value_kind:     global_buffer
      - .offset:         56
        .size:           4
        .value_kind:     by_value
      - .actual_access:  read_only
        .address_space:  global
        .offset:         64
        .size:           8
        .value_kind:     global_buffer
      - .actual_access:  read_only
        .address_space:  global
        .offset:         72
        .size:           8
        .value_kind:     global_buffer
      - .address_space:  global
        .offset:         80
        .size:           8
        .value_kind:     global_buffer
    .group_segment_fixed_size: 0
    .kernarg_segment_align: 8
    .kernarg_segment_size: 88
    .language:       OpenCL C
    .language_version:
      - 2
      - 0
    .max_flat_workgroup_size: 125
    .name:           fft_rtc_fwd_len2000_factors_5_5_5_16_wgs_125_tpt_125_halfLds_dp_ip_CI_sbrr_dirReg
    .private_segment_fixed_size: 0
    .sgpr_count:     28
    .sgpr_spill_count: 0
    .symbol:         fft_rtc_fwd_len2000_factors_5_5_5_16_wgs_125_tpt_125_halfLds_dp_ip_CI_sbrr_dirReg.kd
    .uniform_work_group_size: 1
    .uses_dynamic_stack: false
    .vgpr_count:     210
    .vgpr_spill_count: 0
    .wavefront_size: 64
amdhsa.target:   amdgcn-amd-amdhsa--gfx906
amdhsa.version:
  - 1
  - 2
...

	.end_amdgpu_metadata
